;; amdgpu-corpus repo=ROCm/rocFFT kind=compiled arch=gfx1030 opt=O3
	.text
	.amdgcn_target "amdgcn-amd-amdhsa--gfx1030"
	.amdhsa_code_object_version 6
	.protected	bluestein_single_back_len1782_dim1_sp_op_CI_CI ; -- Begin function bluestein_single_back_len1782_dim1_sp_op_CI_CI
	.globl	bluestein_single_back_len1782_dim1_sp_op_CI_CI
	.p2align	8
	.type	bluestein_single_back_len1782_dim1_sp_op_CI_CI,@function
bluestein_single_back_len1782_dim1_sp_op_CI_CI: ; @bluestein_single_back_len1782_dim1_sp_op_CI_CI
; %bb.0:
	s_load_dwordx4 s[12:15], s[4:5], 0x28
	v_mul_u32_u24_e32 v1, 0x296, v0
	v_mov_b32_e32 v135, 0
	s_mov_b32 s0, exec_lo
	v_lshrrev_b32_e32 v1, 16, v1
	v_add_nc_u32_e32 v134, s6, v1
	s_waitcnt lgkmcnt(0)
	v_cmpx_gt_u64_e64 s[12:13], v[134:135]
	s_cbranch_execz .LBB0_15
; %bb.1:
	s_clause 0x1
	s_load_dwordx4 s[8:11], s[4:5], 0x18
	s_load_dwordx2 s[6:7], s[4:5], 0x0
	v_mul_lo_u16 v1, 0x63, v1
	v_sub_nc_u16 v33, v0, v1
	v_and_b32_e32 v180, 0xffff, v33
	v_lshlrev_b32_e32 v179, 3, v180
	s_waitcnt lgkmcnt(0)
	s_load_dwordx4 s[0:3], s[8:9], 0x0
	s_clause 0x1
	global_load_dwordx2 v[149:150], v179, s[6:7]
	global_load_dwordx2 v[145:146], v179, s[6:7] offset:1296
	v_add_co_u32 v132, s8, s6, v179
	v_add_co_ci_u32_e64 v133, null, s7, 0, s8
	v_add_nc_u32_e32 v8, 0x2800, v179
	v_add_co_u32 v130, vcc_lo, 0x800, v132
	v_add_co_ci_u32_e32 v131, vcc_lo, 0, v133, vcc_lo
	v_add_co_u32 v128, vcc_lo, 0x1000, v132
	v_add_co_ci_u32_e32 v129, vcc_lo, 0, v133, vcc_lo
	;; [unrolled: 2-line block ×3, first 2 shown]
	s_waitcnt lgkmcnt(0)
	v_mad_u64_u32 v[0:1], null, s2, v134, 0
	v_mad_u64_u32 v[2:3], null, s0, v180, 0
	v_add_co_u32 v124, vcc_lo, 0x2000, v132
	v_add_co_ci_u32_e32 v125, vcc_lo, 0, v133, vcc_lo
	v_add_co_u32 v122, vcc_lo, 0x2800, v132
	v_mad_u64_u32 v[4:5], null, s3, v134, v[1:2]
	v_add_co_ci_u32_e32 v123, vcc_lo, 0, v133, vcc_lo
	v_add_co_u32 v120, vcc_lo, 0x3000, v132
	v_add_co_ci_u32_e32 v121, vcc_lo, 0, v133, vcc_lo
	v_mad_u64_u32 v[5:6], null, s1, v180, v[3:4]
	v_mov_b32_e32 v1, v4
	s_mul_i32 s3, s1, 0xa2
	s_mul_hi_u32 s6, s0, 0xa2
	s_mul_i32 s2, s0, 0xa2
	s_add_i32 s3, s6, s3
	v_lshlrev_b64 v[0:1], 3, v[0:1]
	v_mov_b32_e32 v3, v5
	s_lshl_b64 s[6:7], s[2:3], 3
	s_clause 0x6
	global_load_dwordx2 v[155:156], v[130:131], off offset:544
	global_load_dwordx2 v[153:154], v[130:131], off offset:1840
	;; [unrolled: 1-line block ×7, first 2 shown]
	v_lshlrev_b64 v[2:3], 3, v[2:3]
	v_add_co_u32 v0, vcc_lo, s14, v0
	v_add_co_ci_u32_e32 v1, vcc_lo, s15, v1, vcc_lo
	v_add_co_u32 v0, vcc_lo, v0, v2
	v_add_co_ci_u32_e32 v1, vcc_lo, v1, v3, vcc_lo
	;; [unrolled: 2-line block ×3, first 2 shown]
	s_clause 0x1
	global_load_dwordx2 v[9:10], v[0:1], off
	global_load_dwordx2 v[11:12], v[2:3], off
	v_add_co_u32 v4, vcc_lo, v2, s6
	v_add_co_ci_u32_e32 v5, vcc_lo, s7, v3, vcc_lo
	v_add_co_u32 v6, vcc_lo, v4, s6
	v_add_co_ci_u32_e32 v7, vcc_lo, s7, v5, vcc_lo
	;; [unrolled: 2-line block ×3, first 2 shown]
	s_clause 0x1
	global_load_dwordx2 v[13:14], v[4:5], off
	global_load_dwordx2 v[5:6], v[6:7], off
	v_add_co_u32 v2, vcc_lo, v0, s6
	v_add_co_ci_u32_e32 v3, vcc_lo, s7, v1, vcc_lo
	global_load_dwordx2 v[15:16], v[0:1], off
	v_add_co_u32 v0, vcc_lo, v2, s6
	v_add_co_ci_u32_e32 v1, vcc_lo, s7, v3, vcc_lo
	;; [unrolled: 3-line block ×6, first 2 shown]
	global_load_dwordx2 v[141:142], v[122:123], off offset:1424
	global_load_dwordx2 v[25:26], v[2:3], off
	global_load_dwordx2 v[143:144], v[120:121], off offset:672
	global_load_dwordx2 v[27:28], v[0:1], off
	s_load_dwordx2 s[2:3], s[4:5], 0x38
	s_load_dwordx4 s[8:11], s[10:11], 0x0
	v_add_nc_u32_e32 v3, 0x800, v179
	v_add_nc_u32_e32 v2, 0x1400, v179
	;; [unrolled: 1-line block ×3, first 2 shown]
	v_cmp_gt_u16_e32 vcc_lo, 63, v33
	s_waitcnt vmcnt(12)
	v_mul_f32_e32 v7, v9, v150
	v_mul_f32_e32 v29, v10, v150
	s_waitcnt vmcnt(11)
	v_mul_f32_e32 v31, v12, v146
	v_fma_f32 v30, v10, v149, -v7
	v_mul_f32_e32 v7, v11, v146
	v_fmac_f32_e32 v29, v9, v149
	v_fmac_f32_e32 v31, v11, v145
	v_fma_f32 v32, v12, v145, -v7
	s_waitcnt vmcnt(10)
	v_mul_f32_e32 v9, v14, v156
	v_mul_f32_e32 v10, v13, v156
	s_waitcnt vmcnt(9)
	v_mul_f32_e32 v11, v6, v154
	v_mul_f32_e32 v34, v5, v154
	ds_write2_b64 v179, v[29:30], v[31:32] offset1:162
	v_fmac_f32_e32 v9, v13, v155
	v_fma_f32 v10, v14, v155, -v10
	v_fmac_f32_e32 v11, v5, v153
	v_fma_f32 v12, v6, v153, -v34
	s_waitcnt vmcnt(8)
	v_mul_f32_e32 v5, v16, v152
	v_mul_f32_e32 v6, v15, v152
	s_waitcnt vmcnt(7)
	v_mul_f32_e32 v7, v17, v148
	v_mul_f32_e32 v13, v18, v148
	ds_write2_b64 v3, v[9:10], v[11:12] offset0:68 offset1:230
	v_fmac_f32_e32 v5, v15, v151
	v_fma_f32 v6, v16, v151, -v6
	v_fma_f32 v14, v18, v147, -v7
	s_waitcnt vmcnt(6)
	v_mul_f32_e32 v7, v19, v140
	v_mul_f32_e32 v9, v20, v140
	v_fmac_f32_e32 v13, v17, v147
	s_waitcnt vmcnt(5)
	v_mul_f32_e32 v11, v22, v138
	v_mul_f32_e32 v12, v21, v138
	v_fma_f32 v10, v20, v139, -v7
	v_fmac_f32_e32 v9, v19, v139
	s_waitcnt vmcnt(4)
	v_mul_f32_e32 v15, v24, v136
	v_mul_f32_e32 v7, v23, v136
	v_fmac_f32_e32 v11, v21, v137
	s_waitcnt vmcnt(2)
	v_mul_f32_e32 v17, v26, v142
	v_mul_f32_e32 v18, v25, v142
	s_waitcnt vmcnt(0)
	v_mul_f32_e32 v19, v28, v144
	v_mul_f32_e32 v20, v27, v144
	v_fma_f32 v12, v22, v137, -v12
	v_fmac_f32_e32 v15, v23, v135
	v_fma_f32 v16, v24, v135, -v7
	v_fmac_f32_e32 v17, v25, v141
	;; [unrolled: 2-line block ×3, first 2 shown]
	v_fma_f32 v20, v28, v143, -v20
	ds_write2_b64 v2, v[5:6], v[13:14] offset0:8 offset1:170
	ds_write2_b64 v4, v[9:10], v[11:12] offset0:76 offset1:238
	;; [unrolled: 1-line block ×3, first 2 shown]
	ds_write_b64 v179, v[19:20] offset:12960
	s_and_saveexec_b32 s12, vcc_lo
	s_cbranch_execz .LBB0_3
; %bb.2:
	v_mad_u64_u32 v[0:1], null, 0xffffd078, s0, v[0:1]
	s_mulk_i32 s1, 0xd078
	global_load_dwordx2 v[5:6], v[132:133], off offset:792
	s_sub_i32 s0, s1, s0
	s_clause 0x4
	global_load_dwordx2 v[9:10], v[130:131], off offset:40
	global_load_dwordx2 v[11:12], v[130:131], off offset:1336
	;; [unrolled: 1-line block ×5, first 2 shown]
	v_add_nc_u32_e32 v51, 0x200, v179
	v_add_nc_u32_e32 v1, s0, v1
	v_add_co_u32 v17, s0, v0, s6
	v_add_nc_u32_e32 v52, 0xc00, v179
	v_add_nc_u32_e32 v53, 0x1600, v179
	v_add_co_ci_u32_e64 v18, s0, s7, v1, s0
	v_add_co_u32 v21, s0, v17, s6
	global_load_dwordx2 v[0:1], v[0:1], off
	v_add_co_ci_u32_e64 v22, s0, s7, v18, s0
	v_add_co_u32 v23, s0, v21, s6
	global_load_dwordx2 v[17:18], v[17:18], off
	;; [unrolled: 3-line block ×6, first 2 shown]
	v_add_co_ci_u32_e64 v32, s0, s7, v30, s0
	v_add_co_u32 v33, s0, v31, s6
	v_add_nc_u32_e32 v54, 0x2000, v179
	v_add_co_ci_u32_e64 v34, s0, s7, v32, s0
	s_clause 0x1
	global_load_dwordx2 v[35:36], v[124:125], off offset:376
	global_load_dwordx2 v[37:38], v[124:125], off offset:1672
	global_load_dwordx2 v[29:30], v[29:30], off
	global_load_dwordx2 v[31:32], v[31:32], off
	;; [unrolled: 1-line block ×3, first 2 shown]
	v_add_co_u32 v33, s0, v33, s6
	v_add_co_ci_u32_e64 v34, s0, s7, v34, s0
	global_load_dwordx2 v[41:42], v[122:123], off offset:920
	v_add_co_u32 v43, s0, v33, s6
	v_add_co_ci_u32_e64 v44, s0, s7, v34, s0
	global_load_dwordx2 v[33:34], v[33:34], off
	s_clause 0x1
	global_load_dwordx2 v[45:46], v[120:121], off offset:168
	global_load_dwordx2 v[47:48], v[120:121], off offset:1464
	global_load_dwordx2 v[43:44], v[43:44], off
	v_add_nc_u32_e32 v55, 0x2a00, v179
	s_waitcnt vmcnt(15)
	v_mul_f32_e32 v49, v1, v6
	v_mul_f32_e32 v7, v0, v6
	s_waitcnt vmcnt(14)
	v_mul_f32_e32 v6, v18, v10
	v_mul_f32_e32 v10, v17, v10
	v_fmac_f32_e32 v49, v0, v5
	v_fma_f32 v50, v1, v5, -v7
	v_fmac_f32_e32 v6, v17, v9
	v_fma_f32 v7, v18, v9, -v10
	s_waitcnt vmcnt(13)
	v_mul_f32_e32 v0, v22, v12
	v_mul_f32_e32 v1, v21, v12
	s_waitcnt vmcnt(12)
	v_mul_f32_e32 v5, v24, v14
	ds_write2_b64 v51, v[49:50], v[6:7] offset0:35 offset1:197
	v_mul_f32_e32 v6, v23, v14
	v_fmac_f32_e32 v0, v21, v11
	v_fma_f32 v1, v22, v11, -v1
	s_waitcnt vmcnt(11)
	v_mul_f32_e32 v7, v25, v16
	v_mul_f32_e32 v9, v26, v16
	v_fmac_f32_e32 v5, v23, v13
	v_fma_f32 v6, v24, v13, -v6
	s_waitcnt vmcnt(10)
	v_mul_f32_e32 v11, v28, v20
	v_mul_f32_e32 v12, v27, v20
	v_fma_f32 v10, v26, v15, -v7
	v_fmac_f32_e32 v9, v25, v15
	v_fmac_f32_e32 v11, v27, v19
	s_waitcnt vmcnt(7)
	v_mul_f32_e32 v7, v29, v36
	v_mul_f32_e32 v13, v30, v36
	s_waitcnt vmcnt(6)
	v_mul_f32_e32 v15, v32, v38
	v_mul_f32_e32 v16, v31, v38
	v_fma_f32 v12, v28, v19, -v12
	v_fma_f32 v14, v30, v35, -v7
	v_fmac_f32_e32 v13, v29, v35
	s_waitcnt vmcnt(4)
	v_mul_f32_e32 v17, v40, v42
	v_mul_f32_e32 v7, v39, v42
	v_fmac_f32_e32 v15, v31, v37
	s_waitcnt vmcnt(2)
	v_mul_f32_e32 v19, v34, v46
	v_mul_f32_e32 v20, v33, v46
	s_waitcnt vmcnt(0)
	v_mul_f32_e32 v21, v44, v48
	v_mul_f32_e32 v22, v43, v48
	v_fma_f32 v16, v32, v37, -v16
	v_fmac_f32_e32 v17, v39, v41
	v_fma_f32 v18, v40, v41, -v7
	v_fmac_f32_e32 v19, v33, v45
	;; [unrolled: 2-line block ×3, first 2 shown]
	v_fma_f32 v22, v44, v47, -v22
	ds_write2_b64 v52, v[0:1], v[5:6] offset0:39 offset1:201
	ds_write2_b64 v53, v[9:10], v[11:12] offset0:43 offset1:205
	;; [unrolled: 1-line block ×4, first 2 shown]
	ds_write_b64 v179, v[21:22] offset:13752
.LBB0_3:
	s_or_b32 exec_lo, exec_lo, s12
	s_waitcnt lgkmcnt(0)
	s_barrier
	buffer_gl0_inv
	ds_read2_b64 v[36:39], v179 offset1:162
	ds_read2_b64 v[28:31], v3 offset0:68 offset1:230
	ds_read2_b64 v[0:3], v2 offset0:8 offset1:170
	;; [unrolled: 1-line block ×4, first 2 shown]
	ds_read_b64 v[42:43], v179 offset:12960
	s_load_dwordx2 s[4:5], s[4:5], 0x8
	v_mov_b32_e32 v12, 0
	v_mov_b32_e32 v13, 0
                                        ; implicit-def: $vgpr16
                                        ; implicit-def: $vgpr8
                                        ; implicit-def: $vgpr40
                                        ; implicit-def: $vgpr22
                                        ; implicit-def: $vgpr26
	s_and_saveexec_b32 s0, vcc_lo
	s_cbranch_execz .LBB0_5
; %bb.4:
	v_add_nc_u32_e32 v8, 0x200, v179
	v_add_nc_u32_e32 v9, 0xc00, v179
	v_add_nc_u32_e32 v10, 0x1600, v179
	v_add_nc_u32_e32 v11, 0x2000, v179
	v_add_nc_u32_e32 v40, 0x2a00, v179
	ds_read2_b64 v[12:15], v8 offset0:35 offset1:197
	ds_read2_b64 v[24:27], v9 offset0:39 offset1:201
	;; [unrolled: 1-line block ×5, first 2 shown]
	ds_read_b64 v[40:41], v179 offset:13752
.LBB0_5:
	s_or_b32 exec_lo, exec_lo, s0
	s_waitcnt lgkmcnt(0)
	v_add_f32_e32 v44, v36, v38
	v_add_f32_e32 v45, v37, v39
	v_sub_f32_e32 v47, v39, v43
	v_add_f32_e32 v49, v43, v39
	v_sub_f32_e32 v48, v38, v42
	v_add_f32_e32 v44, v44, v28
	v_add_f32_e32 v45, v45, v29
	;; [unrolled: 1-line block ×3, first 2 shown]
	v_mul_f32_e32 v38, 0xbf0a6770, v47
	v_mul_f32_e32 v50, 0xbf68dda4, v47
	v_add_f32_e32 v39, v44, v30
	v_add_f32_e32 v44, v45, v31
	v_mul_f32_e32 v51, 0xbf68dda4, v48
	v_mul_f32_e32 v52, 0xbf7d64f0, v47
	v_fma_f32 v54, 0x3f575c64, v46, -v38
	v_add_f32_e32 v39, v39, v0
	v_add_f32_e32 v44, v44, v1
	v_fmac_f32_e32 v38, 0x3f575c64, v46
	v_fma_f32 v56, 0x3ed4b147, v46, -v50
	v_fmamk_f32 v57, v49, 0x3ed4b147, v51
	v_add_f32_e32 v39, v39, v2
	v_add_f32_e32 v44, v44, v3
	v_fma_f32 v51, 0x3ed4b147, v49, -v51
	v_fma_f32 v58, 0xbe11bafb, v46, -v52
	v_add_f32_e32 v59, v36, v38
	v_add_f32_e32 v39, v39, v4
	;; [unrolled: 1-line block ×3, first 2 shown]
	v_mul_f32_e32 v45, 0xbf0a6770, v48
	v_mul_f32_e32 v53, 0xbf7d64f0, v48
	v_fmac_f32_e32 v50, 0x3ed4b147, v46
	v_add_f32_e32 v39, v39, v6
	v_add_f32_e32 v44, v44, v7
	v_fmac_f32_e32 v52, 0xbe11bafb, v46
	v_sub_f32_e32 v63, v29, v35
	v_fmamk_f32 v55, v49, 0x3f575c64, v45
	v_add_f32_e32 v39, v39, v32
	v_add_f32_e32 v44, v44, v33
	v_fma_f32 v45, 0x3f575c64, v49, -v45
	v_add_f32_e32 v29, v35, v29
	v_add_f32_e32 v54, v36, v54
	;; [unrolled: 1-line block ×6, first 2 shown]
	v_mul_f32_e32 v57, 0xbf4178ce, v47
	v_mul_f32_e32 v47, 0xbe903f40, v47
	v_add_f32_e32 v38, v38, v42
	v_add_f32_e32 v42, v37, v51
	;; [unrolled: 1-line block ×3, first 2 shown]
	v_mul_f32_e32 v58, 0xbf4178ce, v48
	v_fma_f32 v60, 0xbf27a4f4, v46, -v57
	v_fmac_f32_e32 v57, 0xbf27a4f4, v46
	v_fma_f32 v62, 0xbf75a155, v46, -v47
	v_mul_f32_e32 v48, 0xbe903f40, v48
	v_fmac_f32_e32 v47, 0xbf75a155, v46
	v_sub_f32_e32 v46, v28, v34
	v_add_f32_e32 v39, v39, v43
	v_fmamk_f32 v43, v49, 0xbe11bafb, v53
	v_fma_f32 v53, 0xbe11bafb, v49, -v53
	v_fmamk_f32 v61, v49, 0xbf27a4f4, v58
	v_fma_f32 v58, 0xbf27a4f4, v49, -v58
	v_fmamk_f32 v64, v49, 0xbf75a155, v48
	v_add_f32_e32 v28, v34, v28
	v_mul_f32_e32 v34, 0xbf68dda4, v63
	v_fma_f32 v48, 0xbf75a155, v49, -v48
	v_mul_f32_e32 v35, 0xbf68dda4, v46
	v_add_f32_e32 v55, v37, v55
	v_add_f32_e32 v45, v37, v45
	v_add_f32_e32 v50, v36, v50
	v_add_f32_e32 v43, v37, v43
	v_add_f32_e32 v52, v36, v52
	v_add_f32_e32 v53, v37, v53
	v_add_f32_e32 v60, v36, v60
	v_add_f32_e32 v61, v37, v61
	v_add_f32_e32 v57, v36, v57
	v_add_f32_e32 v58, v37, v58
	v_add_f32_e32 v62, v36, v62
	v_add_f32_e32 v49, v37, v64
	v_fma_f32 v64, 0x3ed4b147, v28, -v34
	v_add_f32_e32 v36, v36, v47
	v_add_f32_e32 v37, v37, v48
	v_fmamk_f32 v47, v29, 0x3ed4b147, v35
	v_mul_f32_e32 v48, 0xbf4178ce, v63
	v_fma_f32 v35, 0x3ed4b147, v29, -v35
	v_add_f32_e32 v54, v64, v54
	v_fmac_f32_e32 v34, 0x3ed4b147, v28
	v_add_f32_e32 v47, v47, v55
	v_fma_f32 v55, 0xbf27a4f4, v28, -v48
	v_mul_f32_e32 v64, 0xbf4178ce, v46
	v_add_f32_e32 v35, v35, v45
	v_mul_f32_e32 v45, 0x3e903f40, v63
	v_add_f32_e32 v34, v34, v59
	v_add_f32_e32 v44, v55, v44
	v_fmamk_f32 v55, v29, 0xbf27a4f4, v64
	v_fmac_f32_e32 v48, 0xbf27a4f4, v28
	v_fma_f32 v59, 0xbf27a4f4, v29, -v64
	v_fma_f32 v64, 0xbf75a155, v28, -v45
	v_mul_f32_e32 v65, 0x3e903f40, v46
	v_add_f32_e32 v55, v55, v56
	v_add_f32_e32 v48, v48, v50
	;; [unrolled: 1-line block ×4, first 2 shown]
	v_fmamk_f32 v51, v29, 0xbf75a155, v65
	v_mul_f32_e32 v56, 0x3f7d64f0, v63
	v_fmac_f32_e32 v45, 0xbf75a155, v28
	v_mul_f32_e32 v59, 0x3f7d64f0, v46
	v_mul_f32_e32 v63, 0x3f0a6770, v63
	v_add_f32_e32 v43, v51, v43
	v_fma_f32 v51, 0xbe11bafb, v28, -v56
	v_add_f32_e32 v45, v45, v52
	v_fmamk_f32 v52, v29, 0xbe11bafb, v59
	v_fmac_f32_e32 v56, 0xbe11bafb, v28
	v_fma_f32 v59, 0xbe11bafb, v29, -v59
	v_add_f32_e32 v51, v51, v60
	v_fma_f32 v60, 0x3f575c64, v28, -v63
	v_add_f32_e32 v52, v52, v61
	v_mul_f32_e32 v46, 0x3f0a6770, v46
	v_add_f32_e32 v61, v32, v30
	v_sub_f32_e32 v30, v30, v32
	v_fma_f32 v64, 0xbf75a155, v29, -v65
	v_add_f32_e32 v56, v56, v57
	v_sub_f32_e32 v57, v31, v33
	v_add_f32_e32 v58, v59, v58
	v_add_f32_e32 v59, v60, v62
	v_fmamk_f32 v60, v29, 0x3f575c64, v46
	v_fmac_f32_e32 v63, 0x3f575c64, v28
	v_fma_f32 v28, 0x3f575c64, v29, -v46
	v_add_f32_e32 v29, v33, v31
	v_mul_f32_e32 v32, 0xbf7d64f0, v30
	v_mul_f32_e32 v62, 0xbf7d64f0, v57
	;; [unrolled: 1-line block ×3, first 2 shown]
	v_add_f32_e32 v28, v28, v37
	v_add_f32_e32 v33, v60, v49
	v_fmamk_f32 v37, v29, 0xbe11bafb, v32
	v_fma_f32 v31, 0xbe11bafb, v61, -v62
	v_fma_f32 v32, 0xbe11bafb, v29, -v32
	v_mul_f32_e32 v49, 0x3e903f40, v30
	v_add_f32_e32 v53, v64, v53
	v_add_f32_e32 v37, v37, v47
	v_fma_f32 v47, 0xbf75a155, v61, -v46
	v_add_f32_e32 v31, v31, v54
	v_add_f32_e32 v32, v32, v35
	v_fmamk_f32 v35, v29, 0xbf75a155, v49
	v_mul_f32_e32 v54, 0x3f68dda4, v57
	v_add_f32_e32 v44, v47, v44
	v_fma_f32 v47, 0xbf75a155, v29, -v49
	v_fmac_f32_e32 v46, 0xbf75a155, v61
	v_add_f32_e32 v35, v35, v55
	v_fma_f32 v49, 0x3ed4b147, v61, -v54
	v_mul_f32_e32 v55, 0x3f68dda4, v30
	v_add_f32_e32 v42, v47, v42
	v_mul_f32_e32 v47, 0xbf0a6770, v57
	v_add_f32_e32 v46, v46, v48
	v_add_f32_e32 v48, v49, v50
	v_fmamk_f32 v49, v29, 0x3ed4b147, v55
	v_fma_f32 v50, 0x3ed4b147, v29, -v55
	v_fma_f32 v55, 0x3f575c64, v61, -v47
	v_mul_f32_e32 v60, 0xbf0a6770, v30
	v_mul_f32_e32 v30, 0xbf4178ce, v30
	v_add_f32_e32 v43, v49, v43
	v_add_f32_e32 v49, v50, v53
	;; [unrolled: 1-line block ×3, first 2 shown]
	v_fmac_f32_e32 v47, 0x3f575c64, v61
	v_fmamk_f32 v55, v29, 0xbf27a4f4, v30
	v_fmac_f32_e32 v54, 0x3ed4b147, v61
	v_fmamk_f32 v51, v29, 0x3f575c64, v60
	v_mul_f32_e32 v53, 0xbf4178ce, v57
	v_add_f32_e32 v47, v47, v56
	v_sub_f32_e32 v56, v1, v7
	v_add_f32_e32 v33, v55, v33
	v_add_f32_e32 v55, v6, v0
	v_sub_f32_e32 v0, v0, v6
	v_add_f32_e32 v36, v63, v36
	v_add_f32_e32 v45, v54, v45
	v_fma_f32 v54, 0x3f575c64, v29, -v60
	v_add_f32_e32 v51, v51, v52
	v_fma_f32 v52, 0xbf27a4f4, v61, -v53
	v_mul_f32_e32 v6, 0xbf4178ce, v56
	v_fmac_f32_e32 v53, 0xbf27a4f4, v61
	v_fma_f32 v29, 0xbf27a4f4, v29, -v30
	v_add_f32_e32 v1, v7, v1
	v_mul_f32_e32 v7, 0xbf4178ce, v0
	v_fmac_f32_e32 v62, 0xbe11bafb, v61
	v_fma_f32 v30, 0xbf27a4f4, v55, -v6
	v_add_f32_e32 v36, v53, v36
	v_add_f32_e32 v28, v29, v28
	v_mul_f32_e32 v29, 0x3f7d64f0, v56
	v_fmamk_f32 v53, v1, 0xbf27a4f4, v7
	v_add_f32_e32 v34, v62, v34
	v_add_f32_e32 v30, v30, v31
	v_fmac_f32_e32 v6, 0xbf27a4f4, v55
	v_fma_f32 v7, 0xbf27a4f4, v1, -v7
	v_fma_f32 v31, 0xbe11bafb, v55, -v29
	v_add_f32_e32 v37, v53, v37
	v_mul_f32_e32 v53, 0x3f7d64f0, v0
	v_add_f32_e32 v6, v6, v34
	v_add_f32_e32 v7, v7, v32
	v_add_f32_e32 v31, v31, v44
	v_mul_f32_e32 v32, 0xbf0a6770, v56
	v_fmamk_f32 v34, v1, 0xbe11bafb, v53
	v_fma_f32 v44, 0xbe11bafb, v1, -v53
	v_mul_f32_e32 v53, 0xbf0a6770, v0
	v_fmac_f32_e32 v29, 0xbe11bafb, v55
	v_fma_f32 v57, 0x3f575c64, v55, -v32
	v_add_f32_e32 v34, v34, v35
	v_add_f32_e32 v35, v44, v42
	v_fmamk_f32 v42, v1, 0x3f575c64, v53
	v_add_f32_e32 v29, v29, v46
	v_add_f32_e32 v44, v57, v48
	v_mul_f32_e32 v46, 0xbe903f40, v56
	v_fmac_f32_e32 v32, 0x3f575c64, v55
	v_fma_f32 v48, 0x3f575c64, v1, -v53
	v_add_f32_e32 v42, v42, v43
	v_mul_f32_e32 v43, 0xbe903f40, v0
	v_fma_f32 v53, 0xbf75a155, v55, -v46
	v_add_f32_e32 v32, v32, v45
	v_add_f32_e32 v45, v48, v49
	v_mul_f32_e32 v48, 0x3f68dda4, v56
	v_fmamk_f32 v49, v1, 0xbf75a155, v43
	v_add_f32_e32 v52, v52, v59
	v_add_f32_e32 v50, v53, v50
	v_fmac_f32_e32 v46, 0xbf75a155, v55
	v_fma_f32 v53, 0x3ed4b147, v55, -v48
	v_add_f32_e32 v49, v49, v51
	v_sub_f32_e32 v51, v3, v5
	v_add_f32_e32 v54, v54, v58
	v_fma_f32 v43, 0xbf75a155, v1, -v43
	v_mul_f32_e32 v0, 0x3f68dda4, v0
	v_add_f32_e32 v46, v46, v47
	v_add_f32_e32 v47, v53, v52
	v_sub_f32_e32 v53, v2, v4
	v_add_f32_e32 v4, v4, v2
	v_mul_f32_e32 v2, 0xbe903f40, v51
	v_add_f32_e32 v43, v43, v54
	v_fmamk_f32 v52, v1, 0x3ed4b147, v0
	v_fmac_f32_e32 v48, 0x3ed4b147, v55
	v_fma_f32 v0, 0x3ed4b147, v1, -v0
	v_add_f32_e32 v54, v5, v3
	v_mul_f32_e32 v1, 0xbe903f40, v53
	v_fma_f32 v3, 0xbf75a155, v4, -v2
	v_add_f32_e32 v36, v48, v36
	v_add_f32_e32 v48, v0, v28
	v_mul_f32_e32 v28, 0x3f0a6770, v51
	v_fmamk_f32 v5, v54, 0xbf75a155, v1
	v_add_f32_e32 v0, v3, v30
	v_fma_f32 v3, 0xbf75a155, v54, -v1
	v_fmac_f32_e32 v2, 0xbf75a155, v4
	v_mul_f32_e32 v30, 0x3f0a6770, v53
	v_add_f32_e32 v1, v5, v37
	v_fma_f32 v5, 0x3f575c64, v4, -v28
	v_add_f32_e32 v91, v3, v7
	v_mul_f32_e32 v7, 0xbf4178ce, v51
	v_add_f32_e32 v90, v2, v6
	v_fmamk_f32 v3, v54, 0x3f575c64, v30
	v_add_f32_e32 v2, v5, v31
	v_fmac_f32_e32 v28, 0x3f575c64, v4
	v_fma_f32 v5, 0x3f575c64, v54, -v30
	v_fma_f32 v6, 0xbf27a4f4, v4, -v7
	v_mul_f32_e32 v30, 0xbf4178ce, v53
	v_fmac_f32_e32 v7, 0xbf27a4f4, v4
	v_add_f32_e32 v92, v28, v29
	v_add_f32_e32 v93, v5, v35
	;; [unrolled: 1-line block ×3, first 2 shown]
	v_fmamk_f32 v6, v54, 0xbf27a4f4, v30
	v_mul_f32_e32 v28, 0x3f68dda4, v51
	v_mul_f32_e32 v29, 0x3f68dda4, v53
	v_fma_f32 v30, 0xbf27a4f4, v54, -v30
	v_add_f32_e32 v94, v7, v32
	v_sub_f32_e32 v58, v15, v41
	v_fma_f32 v31, 0x3ed4b147, v4, -v28
	v_fmamk_f32 v7, v54, 0x3ed4b147, v29
	v_add_f32_e32 v95, v30, v45
	v_mul_f32_e32 v30, 0xbf7d64f0, v51
	v_fmac_f32_e32 v28, 0x3ed4b147, v4
	v_add_f32_e32 v96, v31, v50
	v_add_f32_e32 v97, v7, v49
	v_fma_f32 v7, 0x3ed4b147, v54, -v29
	v_fma_f32 v29, 0xbe11bafb, v4, -v30
	v_mul_f32_e32 v31, 0xbf7d64f0, v53
	v_sub_f32_e32 v64, v14, v40
	v_add_f32_e32 v33, v52, v33
	v_add_f32_e32 v98, v28, v46
	;; [unrolled: 1-line block ×4, first 2 shown]
	v_fmamk_f32 v7, v54, 0xbe11bafb, v31
	v_add_f32_e32 v28, v40, v14
	v_mul_f32_e32 v32, 0xbf0a6770, v58
	v_fmac_f32_e32 v30, 0xbe11bafb, v4
	v_add_f32_e32 v29, v41, v15
	v_mul_f32_e32 v37, 0xbf68dda4, v58
	v_mul_f32_e32 v46, 0xbf68dda4, v64
	v_add_f32_e32 v3, v3, v34
	v_fma_f32 v4, 0xbe11bafb, v54, -v31
	v_add_f32_e32 v101, v7, v33
	v_fmamk_f32 v7, v28, 0x3f575c64, v32
	v_add_f32_e32 v102, v30, v36
	v_mul_f32_e32 v34, 0xbf0a6770, v64
	v_fmamk_f32 v30, v28, 0x3ed4b147, v37
	v_fma_f32 v31, 0x3ed4b147, v29, -v46
	v_sub_f32_e32 v68, v25, v11
	v_mul_f32_e32 v60, 0xbf4178ce, v58
	v_mul_f32_e32 v63, 0xbf4178ce, v64
	v_sub_f32_e32 v73, v24, v10
	v_add_f32_e32 v6, v6, v42
	v_add_f32_e32 v103, v4, v48
	;; [unrolled: 1-line block ×3, first 2 shown]
	v_mul_f32_e32 v48, 0xbf7d64f0, v58
	v_fma_f32 v7, 0x3f575c64, v29, -v34
	v_mul_f32_e32 v51, 0xbf7d64f0, v64
	v_add_f32_e32 v43, v30, v12
	v_add_f32_e32 v44, v31, v13
	;; [unrolled: 1-line block ×3, first 2 shown]
	v_mul_f32_e32 v36, 0xbf68dda4, v68
	v_fmamk_f32 v45, v28, 0xbf27a4f4, v60
	v_fma_f32 v47, 0xbf27a4f4, v29, -v63
	v_add_f32_e32 v31, v11, v25
	v_mul_f32_e32 v42, 0xbf68dda4, v73
	v_mul_f32_e32 v49, 0xbf4178ce, v68
	v_fmamk_f32 v33, v28, 0xbe11bafb, v48
	v_add_f32_e32 v7, v7, v13
	v_fma_f32 v35, 0xbe11bafb, v29, -v51
	v_fmamk_f32 v50, v30, 0x3ed4b147, v36
	v_add_f32_e32 v53, v45, v12
	v_add_f32_e32 v55, v47, v13
	v_fma_f32 v45, 0x3ed4b147, v31, -v42
	v_mul_f32_e32 v52, 0xbf4178ce, v73
	v_mul_f32_e32 v54, 0x3e903f40, v68
	v_fmamk_f32 v47, v30, 0xbf27a4f4, v49
	v_mul_f32_e32 v61, 0x3e903f40, v73
	v_add_f32_e32 v33, v33, v12
	v_add_f32_e32 v35, v35, v13
	;; [unrolled: 1-line block ×4, first 2 shown]
	v_fma_f32 v45, 0xbf27a4f4, v31, -v52
	v_fmamk_f32 v50, v30, 0xbf75a155, v54
	v_add_f32_e32 v43, v47, v43
	v_fma_f32 v47, 0xbf75a155, v31, -v61
	v_mul_f32_e32 v66, 0x3f7d64f0, v68
	v_sub_f32_e32 v76, v27, v9
	v_mul_f32_e32 v71, 0x3f7d64f0, v73
	v_add_f32_e32 v44, v45, v44
	v_add_f32_e32 v50, v50, v33
	;; [unrolled: 1-line block ×3, first 2 shown]
	v_fmamk_f32 v35, v30, 0xbe11bafb, v66
	v_add_f32_e32 v33, v8, v26
	v_mul_f32_e32 v45, 0xbf7d64f0, v76
	v_sub_f32_e32 v78, v26, v8
	v_fma_f32 v59, 0xbe11bafb, v31, -v71
	v_add_f32_e32 v53, v35, v53
	v_add_f32_e32 v35, v9, v27
	v_fmamk_f32 v62, v33, 0xbe11bafb, v45
	v_mul_f32_e32 v57, 0x3e903f40, v76
	v_add_f32_e32 v55, v59, v55
	v_mul_f32_e32 v59, 0x3e903f40, v78
	v_mul_f32_e32 v72, 0x3f68dda4, v78
	v_add_f32_e32 v4, v62, v4
	v_fmamk_f32 v67, v33, 0xbf75a155, v57
	v_mul_f32_e32 v62, 0x3f68dda4, v76
	v_fma_f32 v69, 0xbf75a155, v35, -v59
	v_mul_f32_e32 v47, 0xbf7d64f0, v78
	v_mul_f32_e32 v74, 0xbf0a6770, v76
	v_add_f32_e32 v67, v67, v43
	v_fmamk_f32 v43, v33, 0x3ed4b147, v62
	v_add_f32_e32 v79, v69, v44
	v_fma_f32 v44, 0x3ed4b147, v35, -v72
	v_mul_f32_e32 v75, 0xbf0a6770, v78
	v_sub_f32_e32 v81, v21, v19
	v_fma_f32 v65, 0xbe11bafb, v35, -v47
	v_add_f32_e32 v80, v43, v50
	v_add_f32_e32 v84, v44, v56
	v_fmamk_f32 v44, v33, 0x3f575c64, v74
	v_fma_f32 v56, 0x3f575c64, v35, -v75
	v_add_f32_e32 v43, v18, v20
	v_mul_f32_e32 v50, 0xbf4178ce, v81
	v_sub_f32_e32 v83, v20, v18
	v_add_f32_e32 v7, v65, v7
	v_add_f32_e32 v86, v44, v53
	;; [unrolled: 1-line block ×4, first 2 shown]
	v_fmamk_f32 v55, v43, 0xbf27a4f4, v50
	v_mul_f32_e32 v53, 0xbf4178ce, v83
	v_mul_f32_e32 v65, 0x3f7d64f0, v81
	;; [unrolled: 1-line block ×3, first 2 shown]
	v_sub_f32_e32 v88, v23, v17
	v_add_f32_e32 v82, v55, v4
	v_fma_f32 v4, 0xbf27a4f4, v44, -v53
	v_fmamk_f32 v55, v43, 0xbe11bafb, v65
	v_mul_f32_e32 v70, 0xbf0a6770, v81
	v_fma_f32 v56, 0xbe11bafb, v44, -v69
	v_sub_f32_e32 v89, v22, v16
	v_add_f32_e32 v7, v4, v7
	v_add_f32_e32 v87, v55, v67
	v_mul_lo_u16 v67, v180, 11
	v_mov_b32_e32 v4, 3
	v_add_f32_e32 v55, v16, v22
	v_fmamk_f32 v85, v43, 0x3f575c64, v70
	v_mul_f32_e32 v77, 0xbf0a6770, v83
	v_add_f32_e32 v105, v56, v79
	v_lshlrev_b32_sdwa v182, v4, v67 dst_sel:DWORD dst_unused:UNUSED_PAD src0_sel:DWORD src1_sel:WORD_0
	v_mul_f32_e32 v67, 0xbe903f40, v88
	v_mul_f32_e32 v79, 0xbe903f40, v81
	v_add_f32_e32 v56, v17, v23
	s_barrier
	buffer_gl0_inv
	ds_write2_b64 v182, v[38:39], v[0:1] offset1:1
	v_mul_f32_e32 v38, 0xbe903f40, v89
	v_mul_f32_e32 v39, 0x3f0a6770, v88
	v_fmamk_f32 v0, v55, 0xbf75a155, v67
	v_add_f32_e32 v106, v85, v80
	v_fma_f32 v107, 0x3f575c64, v44, -v77
	v_mul_f32_e32 v80, 0x3f0a6770, v89
	ds_write2_b64 v182, v[2:3], v[5:6] offset0:2 offset1:3
	v_fma_f32 v1, 0xbf75a155, v56, -v38
	v_fmamk_f32 v2, v55, 0x3f575c64, v39
	v_mul_f32_e32 v85, 0xbe903f40, v83
	v_add_f32_e32 v157, v0, v82
	v_fmamk_f32 v0, v43, 0xbf75a155, v79
	v_mul_f32_e32 v82, 0xbf4178ce, v88
	v_fma_f32 v3, 0x3f575c64, v56, -v80
	v_add_f32_e32 v158, v1, v7
	v_add_f32_e32 v2, v2, v87
	;; [unrolled: 1-line block ×3, first 2 shown]
	v_fma_f32 v5, 0xbf75a155, v44, -v85
	v_add_f32_e32 v6, v0, v86
	v_fmamk_f32 v0, v55, 0xbf27a4f4, v82
	v_mul_f32_e32 v84, 0xbf4178ce, v89
	v_mul_f32_e32 v86, 0x3f68dda4, v88
	;; [unrolled: 1-line block ×3, first 2 shown]
	v_add_f32_e32 v3, v3, v105
	v_add_f32_e32 v7, v5, v104
	;; [unrolled: 1-line block ×3, first 2 shown]
	v_fma_f32 v104, 0xbf27a4f4, v56, -v84
	v_fmamk_f32 v105, v55, 0x3ed4b147, v86
	v_fma_f32 v106, 0x3ed4b147, v56, -v87
	v_add_co_u32 v5, s0, 0x63, v180
	v_add_f32_e32 v1, v104, v1
	v_add_f32_e32 v6, v105, v6
	;; [unrolled: 1-line block ×3, first 2 shown]
	v_mul_u32_u24_e32 v181, 11, v5
	v_add_co_ci_u32_e64 v107, null, 0, 0, s0
	ds_write2_b64 v182, v[96:97], v[100:101] offset0:4 offset1:5
	ds_write2_b64 v182, v[102:103], v[98:99] offset0:6 offset1:7
	;; [unrolled: 1-line block ×3, first 2 shown]
	ds_write_b64 v182, v[90:91] offset:80
	s_and_saveexec_b32 s0, vcc_lo
	s_cbranch_execz .LBB0_7
; %bb.6:
	v_mul_f32_e32 v161, 0xbe903f40, v64
	v_mul_f32_e32 v73, 0x3f0a6770, v73
	;; [unrolled: 1-line block ×5, first 2 shown]
	v_fmamk_f32 v64, v29, 0xbf75a155, v161
	v_fmamk_f32 v168, v31, 0x3f575c64, v73
	v_mul_f32_e32 v97, 0xbf27a4f4, v29
	v_mul_f32_e32 v89, 0xbf7d64f0, v89
	;; [unrolled: 1-line block ×3, first 2 shown]
	v_add_f32_e32 v64, v64, v13
	v_mul_f32_e32 v104, 0xbe11bafb, v30
	v_mul_f32_e32 v105, 0xbe11bafb, v31
	v_add_f32_e32 v63, v63, v97
	v_sub_f32_e32 v60, v96, v60
	v_add_f32_e32 v64, v168, v64
	v_fmamk_f32 v168, v35, 0xbf27a4f4, v78
	v_mul_f32_e32 v93, 0x3ed4b147, v29
	v_mul_f32_e32 v103, 0xbf75a155, v31
	;; [unrolled: 1-line block ×4, first 2 shown]
	v_add_f32_e32 v64, v168, v64
	v_fmamk_f32 v168, v44, 0x3ed4b147, v83
	v_add_f32_e32 v71, v71, v105
	v_add_f32_e32 v60, v60, v12
	v_sub_f32_e32 v66, v104, v66
	v_add_f32_e32 v51, v51, v95
	v_add_f32_e32 v64, v168, v64
	v_fmamk_f32 v168, v56, 0xbe11bafb, v89
	v_add_f32_e32 v15, v15, v13
	v_mul_f32_e32 v92, 0x3ed4b147, v28
	v_mul_f32_e32 v101, 0xbf27a4f4, v31
	;; [unrolled: 1-line block ×3, first 2 shown]
	v_add_f32_e32 v64, v168, v64
	v_add_f32_e32 v168, v63, v13
	v_mul_f32_e32 v159, 0xbf75a155, v43
	v_mul_f32_e32 v160, 0xbf75a155, v44
	v_add_f32_e32 v75, v75, v113
	v_add_f32_e32 v60, v66, v60
	;; [unrolled: 1-line block ×3, first 2 shown]
	v_sub_f32_e32 v66, v112, v74
	v_add_f32_e32 v51, v51, v13
	v_add_f32_e32 v61, v61, v103
	;; [unrolled: 1-line block ×5, first 2 shown]
	v_mul_f32_e32 v100, 0xbf27a4f4, v30
	v_mul_f32_e32 v109, 0xbf75a155, v35
	;; [unrolled: 1-line block ×4, first 2 shown]
	v_add_f32_e32 v71, v75, v71
	v_add_f32_e32 v74, v85, v160
	;; [unrolled: 1-line block ×3, first 2 shown]
	v_sub_f32_e32 v66, v159, v79
	v_add_f32_e32 v51, v61, v51
	v_add_f32_e32 v61, v72, v111
	;; [unrolled: 1-line block ×4, first 2 shown]
	v_sub_f32_e32 v37, v92, v37
	v_add_f32_e32 v14, v24, v14
	v_add_f32_e32 v15, v27, v15
	v_mul_f32_e32 v108, 0xbf75a155, v33
	v_mul_f32_e32 v117, 0xbe11bafb, v44
	;; [unrolled: 1-line block ×3, first 2 shown]
	v_add_f32_e32 v71, v74, v71
	v_add_f32_e32 v60, v66, v60
	v_sub_f32_e32 v66, v169, v86
	v_add_f32_e32 v51, v61, v51
	v_add_f32_e32 v74, v77, v119
	;; [unrolled: 1-line block ×5, first 2 shown]
	v_sub_f32_e32 v49, v100, v49
	v_add_f32_e32 v14, v26, v14
	v_add_f32_e32 v15, v21, v15
	v_mul_f32_e32 v90, 0x3f575c64, v28
	v_mul_f32_e32 v91, 0x3f575c64, v29
	;; [unrolled: 1-line block ×3, first 2 shown]
	v_add_f32_e32 v60, v66, v60
	v_add_f32_e32 v51, v74, v51
	;; [unrolled: 1-line block ×6, first 2 shown]
	v_sub_f32_e32 v49, v108, v57
	v_add_f32_e32 v14, v20, v14
	v_mul_f32_e32 v94, 0xbe11bafb, v28
	v_mul_f32_e32 v58, 0xbe903f40, v58
	v_add_f32_e32 v23, v23, v15
	v_mul_f32_e32 v98, 0x3ed4b147, v30
	v_mul_f32_e32 v99, 0x3ed4b147, v31
	v_add_f32_e32 v46, v52, v46
	v_add_f32_e32 v52, v80, v165
	;; [unrolled: 1-line block ×5, first 2 shown]
	v_sub_f32_e32 v32, v90, v32
	v_add_f32_e32 v22, v22, v14
	v_mul_f32_e32 v102, 0xbf75a155, v30
	v_sub_f32_e32 v48, v94, v48
	v_fma_f32 v170, 0xbf75a155, v28, -v58
	v_mul_f32_e32 v68, 0x3f0a6770, v68
	v_add_f32_e32 v17, v17, v23
	v_fma_f32 v23, 0xbf75a155, v29, -v161
	v_fmac_f32_e32 v58, 0xbf75a155, v28
	v_mul_f32_e32 v106, 0xbe11bafb, v33
	v_mul_f32_e32 v107, 0xbe11bafb, v35
	v_add_f32_e32 v34, v52, v46
	v_add_f32_e32 v46, v51, v13
	;; [unrolled: 1-line block ×4, first 2 shown]
	v_sub_f32_e32 v36, v98, v36
	v_add_f32_e32 v16, v16, v22
	v_mul_f32_e32 v110, 0x3ed4b147, v33
	v_add_f32_e32 v48, v48, v12
	v_sub_f32_e32 v54, v102, v54
	v_add_f32_e32 v170, v170, v12
	v_fma_f32 v171, 0x3f575c64, v30, -v68
	v_mul_f32_e32 v76, 0xbf4178ce, v76
	v_add_f32_e32 v17, v19, v17
	v_add_f32_e32 v13, v23, v13
	v_fma_f32 v19, 0x3f575c64, v31, -v73
	v_add_f32_e32 v12, v58, v12
	v_fmac_f32_e32 v68, 0x3f575c64, v30
	v_mul_f32_e32 v114, 0xbf27a4f4, v43
	v_mul_f32_e32 v115, 0xbf27a4f4, v44
	v_add_f32_e32 v42, v42, v46
	v_add_f32_e32 v25, v47, v107
	;; [unrolled: 1-line block ×3, first 2 shown]
	v_sub_f32_e32 v36, v106, v45
	v_add_f32_e32 v16, v18, v16
	v_mul_f32_e32 v116, 0xbe11bafb, v43
	v_mul_f32_e32 v118, 0x3f575c64, v43
	v_add_f32_e32 v48, v54, v48
	v_sub_f32_e32 v54, v110, v62
	v_add_f32_e32 v170, v171, v170
	v_fma_f32 v171, 0xbf27a4f4, v33, -v76
	v_mul_f32_e32 v81, 0x3f68dda4, v81
	v_add_f32_e32 v9, v9, v17
	v_add_f32_e32 v13, v19, v13
	v_fma_f32 v17, 0xbf27a4f4, v35, -v78
	v_add_f32_e32 v12, v68, v12
	v_fmac_f32_e32 v76, 0xbf27a4f4, v33
	v_mul_f32_e32 v162, 0xbf75a155, v55
	v_mul_f32_e32 v163, 0xbf75a155, v56
	v_add_f32_e32 v24, v25, v42
	v_add_f32_e32 v25, v53, v115
	;; [unrolled: 1-line block ×3, first 2 shown]
	v_sub_f32_e32 v21, v114, v50
	v_add_f32_e32 v8, v8, v16
	v_mul_f32_e32 v164, 0x3f575c64, v55
	v_mul_f32_e32 v166, 0xbf27a4f4, v55
	v_add_f32_e32 v48, v54, v48
	v_sub_f32_e32 v54, v118, v70
	v_sub_f32_e32 v57, v116, v65
	v_mul_f32_e32 v172, 0x3ed4b147, v56
	v_add_f32_e32 v170, v171, v170
	v_fma_f32 v171, 0x3ed4b147, v43, -v81
	v_mul_f32_e32 v88, 0xbf7d64f0, v88
	v_add_f32_e32 v9, v11, v9
	v_add_f32_e32 v11, v17, v13
	v_fma_f32 v13, 0x3ed4b147, v44, -v83
	v_add_f32_e32 v12, v76, v12
	v_fmac_f32_e32 v81, 0x3ed4b147, v43
	v_add_f32_e32 v24, v25, v24
	v_add_f32_e32 v25, v38, v163
	;; [unrolled: 1-line block ×3, first 2 shown]
	v_sub_f32_e32 v21, v162, v67
	v_add_f32_e32 v8, v10, v8
	v_add_f32_e32 v48, v54, v48
	v_sub_f32_e32 v54, v166, v82
	v_add_f32_e32 v37, v57, v37
	v_sub_f32_e32 v39, v164, v39
	v_add_f32_e32 v96, v171, v170
	v_fma_f32 v97, 0xbe11bafb, v55, -v88
	v_add_f32_e32 v72, v87, v172
	v_add_f32_e32 v10, v13, v11
	v_fma_f32 v11, 0xbe11bafb, v56, -v89
	v_add_f32_e32 v12, v81, v12
	v_fmac_f32_e32 v88, 0xbe11bafb, v55
	v_add_f32_e32 v15, v25, v24
	v_add_f32_e32 v14, v21, v20
	;; [unrolled: 1-line block ×4, first 2 shown]
	v_lshlrev_b32_e32 v13, 3, v181
	v_add_f32_e32 v48, v54, v48
	v_add_f32_e32 v33, v39, v37
	;; [unrolled: 1-line block ×6, first 2 shown]
	ds_write2_b64 v13, v[8:9], v[14:15] offset1:1
	ds_write2_b64 v13, v[33:34], v[48:49] offset0:2 offset1:3
	ds_write2_b64 v13, v[60:61], v[63:64] offset0:4 offset1:5
	;; [unrolled: 1-line block ×4, first 2 shown]
	ds_write_b64 v13, v[157:158] offset:80
.LBB0_7:
	s_or_b32 exec_lo, exec_lo, s0
	v_and_b32_e32 v59, 0xff, v180
	v_add_co_u32 v76, null, 0xc6, v180
	v_mov_b32_e32 v8, 0xba2f
	v_add_nc_u32_e32 v56, 0x129, v180
	v_and_b32_e32 v60, 0xff, v5
	v_mul_lo_u16 v24, 0x75, v59
	v_add_nc_u32_e32 v57, 0x18c, v180
	v_mul_u32_u24_sdwa v9, v76, v8 dst_sel:DWORD dst_unused:UNUSED_PAD src0_sel:WORD_0 src1_sel:DWORD
	v_mul_u32_u24_sdwa v10, v56, v8 dst_sel:DWORD dst_unused:UNUSED_PAD src0_sel:WORD_0 src1_sel:DWORD
	v_mul_lo_u16 v25, 0x75, v60
	v_lshrrev_b16 v24, 8, v24
	v_add_nc_u32_e32 v58, 0x1ef, v180
	v_lshrrev_b32_e32 v54, 19, v9
	v_mul_u32_u24_sdwa v9, v57, v8 dst_sel:DWORD dst_unused:UNUSED_PAD src0_sel:WORD_0 src1_sel:DWORD
	v_lshrrev_b32_e32 v55, 19, v10
	v_lshrrev_b16 v25, 8, v25
	v_sub_nc_u16 v26, v180, v24
	v_mul_lo_u16 v10, v54, 11
	v_mul_u32_u24_sdwa v8, v58, v8 dst_sel:DWORD dst_unused:UNUSED_PAD src0_sel:WORD_0 src1_sel:DWORD
	v_lshrrev_b32_e32 v65, 19, v9
	v_mul_lo_u16 v9, v55, 11
	v_sub_nc_u16 v27, v5, v25
	v_lshrrev_b16 v26, 1, v26
	v_sub_nc_u16 v66, v76, v10
	v_lshrrev_b32_e32 v75, 19, v8
	v_mul_lo_u16 v8, v65, 11
	v_sub_nc_u16 v89, v56, v9
	v_lshrrev_b16 v27, 1, v27
	v_and_b32_e32 v26, 0x7f, v26
	v_lshlrev_b16 v9, 1, v66
	v_mul_lo_u16 v10, v75, 11
	v_sub_nc_u16 v90, v57, v8
	v_lshlrev_b16 v8, 1, v89
	v_and_b32_e32 v27, 0x7f, v27
	v_add_nc_u16 v24, v26, v24
	v_lshlrev_b32_sdwa v9, v4, v9 dst_sel:DWORD dst_unused:UNUSED_PAD src0_sel:DWORD src1_sel:WORD_0
	v_sub_nc_u16 v91, v58, v10
	v_lshlrev_b32_sdwa v8, v4, v8 dst_sel:DWORD dst_unused:UNUSED_PAD src0_sel:DWORD src1_sel:WORD_0
	v_add_nc_u16 v25, v27, v25
	v_lshlrev_b16 v10, 1, v90
	v_lshrrev_b16 v92, 3, v24
	s_waitcnt lgkmcnt(0)
	s_barrier
	buffer_gl0_inv
	s_clause 0x1
	global_load_dwordx4 v[20:23], v9, s[4:5]
	global_load_dwordx4 v[16:19], v8, s[4:5]
	v_lshlrev_b16 v9, 1, v91
	v_lshrrev_b16 v93, 3, v25
	v_lshlrev_b32_sdwa v10, v4, v10 dst_sel:DWORD dst_unused:UNUSED_PAD src0_sel:DWORD src1_sel:WORD_0
	v_mul_lo_u16 v24, v92, 11
	v_mov_b32_e32 v61, 0xf83f
	v_lshlrev_b32_sdwa v8, v4, v9 dst_sel:DWORD dst_unused:UNUSED_PAD src0_sel:DWORD src1_sel:WORD_0
	v_mul_lo_u16 v25, v93, 11
	s_clause 0x1
	global_load_dwordx4 v[12:15], v10, s[4:5]
	global_load_dwordx4 v[8:11], v8, s[4:5]
	v_sub_nc_u16 v24, v180, v24
	v_sub_nc_u16 v25, v5, v25
	v_mul_lo_u16 v59, 0xf9, v59
	v_mul_u32_u24_sdwa v62, v76, v61 dst_sel:DWORD dst_unused:UNUSED_PAD src0_sel:WORD_0 src1_sel:DWORD
	v_add_nc_u32_e32 v103, 0x1000, v179
	v_and_b32_e32 v52, 0xff, v24
	v_and_b32_e32 v53, 0xff, v25
	v_add_nc_u32_e32 v107, 0x2400, v179
	v_add_nc_u32_e32 v106, 0x400, v179
	;; [unrolled: 1-line block ×3, first 2 shown]
	v_lshlrev_b32_e32 v24, 4, v52
	v_lshlrev_b32_e32 v25, 4, v53
	s_clause 0x1
	global_load_dwordx4 v[28:31], v24, s[4:5]
	global_load_dwordx4 v[24:27], v25, s[4:5]
	v_add_nc_u32_e32 v112, 0x2800, v179
	v_mul_lo_u16 v60, 0xf9, v60
	v_mul_u32_u24_sdwa v67, v56, v61 dst_sel:DWORD dst_unused:UNUSED_PAD src0_sel:WORD_0 src1_sel:DWORD
	v_mul_u32_u24_sdwa v69, v58, v61 dst_sel:DWORD dst_unused:UNUSED_PAD src0_sel:WORD_0 src1_sel:DWORD
	v_lshrrev_b16 v64, 13, v59
	v_lshrrev_b32_e32 v59, 21, v62
	ds_read2_b64 v[32:35], v179 offset1:99
	v_add_nc_u32_e32 v102, 0x800, v179
	v_add_nc_u32_e32 v104, 0x1c00, v179
	v_add_nc_u32_e32 v108, 0x3000, v179
	ds_read2_b64 v[48:51], v103 offset0:82 offset1:181
	ds_read2_b64 v[44:47], v107 offset0:36 offset1:135
	;; [unrolled: 1-line block ×8, first 2 shown]
	v_mul_u32_u24_sdwa v68, v57, v61 dst_sel:DWORD dst_unused:UNUSED_PAD src0_sel:WORD_0 src1_sel:DWORD
	v_lshrrev_b16 v63, 13, v60
	v_lshrrev_b32_e32 v60, 21, v67
	v_lshrrev_b32_e32 v62, 21, v69
	v_mul_lo_u16 v67, v64, 33
	v_mul_lo_u16 v69, v59, 33
	v_mov_b32_e32 v94, 33
	v_mad_u16 v55, v55, 33, v89
	v_lshrrev_b32_e32 v61, 21, v68
	v_mul_lo_u16 v68, v63, 33
	v_sub_nc_u16 v97, v180, v67
	v_sub_nc_u16 v67, v76, v69
	v_lshlrev_b32_sdwa v185, v4, v55 dst_sel:DWORD dst_unused:UNUSED_PAD src0_sel:DWORD src1_sel:WORD_0
	v_mul_u32_u24_sdwa v55, v92, v94 dst_sel:DWORD dst_unused:UNUSED_PAD src0_sel:WORD_0 src1_sel:DWORD
	v_mul_u32_u24_sdwa v92, v93, v94 dst_sel:DWORD dst_unused:UNUSED_PAD src0_sel:WORD_0 src1_sel:DWORD
	v_sub_nc_u16 v98, v5, v68
	v_mad_u16 v54, v54, 33, v66
	v_mad_u16 v89, v65, 33, v90
	v_lshlrev_b16 v90, 4, v67
	v_add_lshl_u32 v188, v55, v52, 3
	v_add_lshl_u32 v187, v92, v53, 3
	v_and_b32_e32 v66, 0xff, v98
	v_lshlrev_b32_sdwa v186, v4, v54 dst_sel:DWORD dst_unused:UNUSED_PAD src0_sel:DWORD src1_sel:WORD_0
	v_and_b32_e32 v54, 0xffff, v90
	v_lshlrev_b32_sdwa v184, v4, v89 dst_sel:DWORD dst_unused:UNUSED_PAD src0_sel:DWORD src1_sel:WORD_0
	v_mul_lo_u16 v70, v60, 33
	v_mul_lo_u16 v95, v61, 33
	v_mul_lo_u16 v96, v62, 33
	v_add_co_u32 v89, s0, s4, v54
	v_sub_nc_u16 v68, v56, v70
	v_sub_nc_u16 v69, v57, v95
	v_mad_u16 v75, v75, 33, v91
	v_sub_nc_u16 v70, v58, v96
	v_and_b32_e32 v65, 0xff, v97
	v_lshlrev_b16 v91, 4, v68
	v_lshlrev_b16 v95, 4, v69
	v_lshlrev_b32_sdwa v183, v4, v75 dst_sel:DWORD dst_unused:UNUSED_PAD src0_sel:DWORD src1_sel:WORD_0
	v_lshlrev_b16 v96, 4, v70
	v_add_co_ci_u32_e64 v90, null, s5, 0, s0
	v_and_b32_e32 v91, 0xffff, v91
	v_and_b32_e32 v95, 0xffff, v95
	s_waitcnt vmcnt(0) lgkmcnt(0)
	s_barrier
	buffer_gl0_inv
	v_lshlrev_b32_e32 v75, 4, v65
	v_and_b32_e32 v96, 0xffff, v96
	v_lshlrev_b32_e32 v97, 4, v66
	v_mad_u16 v67, 0x63, v59, v67
	v_mad_u16 v68, 0x63, v60, v68
	;; [unrolled: 1-line block ×4, first 2 shown]
	v_lshlrev_b32_e32 v5, 4, v5
	v_lshlrev_b32_sdwa v192, v4, v67 dst_sel:DWORD dst_unused:UNUSED_PAD src0_sel:DWORD src1_sel:WORD_0
	v_lshlrev_b32_sdwa v191, v4, v68 dst_sel:DWORD dst_unused:UNUSED_PAD src0_sel:DWORD src1_sel:WORD_0
	v_lshlrev_b32_sdwa v190, v4, v69 dst_sel:DWORD dst_unused:UNUSED_PAD src0_sel:DWORD src1_sel:WORD_0
	v_lshlrev_b32_sdwa v189, v4, v70 dst_sel:DWORD dst_unused:UNUSED_PAD src0_sel:DWORD src1_sel:WORD_0
	v_mul_f32_e32 v52, v72, v21
	v_mul_f32_e32 v53, v71, v21
	;; [unrolled: 1-line block ×6, first 2 shown]
	v_fma_f32 v52, v71, v20, -v52
	v_fmac_f32_e32 v53, v72, v20
	v_fma_f32 v71, v73, v16, -v92
	v_fma_f32 v72, v79, v18, -v94
	v_mul_f32_e32 v109, v85, v15
	v_mul_f32_e32 v54, v78, v23
	;; [unrolled: 1-line block ×4, first 2 shown]
	v_fmac_f32_e32 v93, v74, v16
	v_fmac_f32_e32 v98, v80, v18
	v_mul_f32_e32 v55, v77, v23
	v_mul_f32_e32 v100, v81, v13
	v_mul_f32_e32 v113, v88, v11
	v_mul_f32_e32 v114, v87, v11
	v_fmac_f32_e32 v109, v86, v14
	v_add_f32_e32 v86, v71, v72
	v_fma_f32 v54, v77, v22, -v54
	v_fma_f32 v73, v81, v12, -v99
	;; [unrolled: 1-line block ×3, first 2 shown]
	v_add_f32_e32 v92, v93, v98
	v_mul_f32_e32 v110, v84, v9
	v_mul_f32_e32 v111, v83, v9
	v_fmac_f32_e32 v55, v78, v22
	v_fmac_f32_e32 v100, v82, v12
	v_fma_f32 v78, v87, v10, -v113
	v_fmac_f32_e32 v114, v88, v10
	v_add_f32_e32 v79, v40, v52
	v_add_f32_e32 v82, v41, v53
	;; [unrolled: 1-line block ×3, first 2 shown]
	v_sub_f32_e32 v87, v93, v98
	v_add_f32_e32 v88, v43, v93
	v_fma_f32 v42, -0.5, v86, v42
	v_add_f32_e32 v80, v52, v54
	v_sub_f32_e32 v93, v71, v72
	v_add_f32_e32 v94, v73, v74
	v_fmac_f32_e32 v43, -0.5, v92
	v_fma_f32 v77, v83, v8, -v110
	v_fmac_f32_e32 v111, v84, v8
	v_sub_f32_e32 v81, v53, v55
	v_add_f32_e32 v83, v53, v55
	v_sub_f32_e32 v84, v52, v54
	v_add_f32_e32 v52, v79, v54
	v_add_f32_e32 v53, v82, v55
	;; [unrolled: 1-line block ×4, first 2 shown]
	v_fmamk_f32 v79, v87, 0x3f5db3d7, v42
	v_fmac_f32_e32 v42, 0xbf5db3d7, v87
	v_mul_f32_e32 v85, v49, v29
	v_mul_f32_e32 v86, v48, v29
	;; [unrolled: 1-line block ×4, first 2 shown]
	v_add_f32_e32 v71, v36, v73
	v_fma_f32 v40, -0.5, v80, v40
	v_fma_f32 v36, -0.5, v94, v36
	v_fmamk_f32 v80, v93, 0xbf5db3d7, v43
	v_fmac_f32_e32 v43, 0x3f5db3d7, v93
	v_mul_f32_e32 v92, v51, v25
	v_mul_f32_e32 v93, v50, v25
	;; [unrolled: 1-line block ×4, first 2 shown]
	v_fma_f32 v48, v48, v28, -v85
	v_fmac_f32_e32 v86, v49, v28
	v_fma_f32 v44, v44, v30, -v87
	v_fmac_f32_e32 v88, v45, v30
	;; [unrolled: 2-line block ×4, first 2 shown]
	v_add_f32_e32 v49, v48, v44
	v_add_f32_e32 v85, v86, v88
	v_sub_f32_e32 v99, v100, v109
	v_add_f32_e32 v87, v45, v46
	v_sub_f32_e32 v92, v93, v98
	v_add_f32_e32 v94, v35, v93
	v_add_f32_e32 v93, v93, v98
	;; [unrolled: 1-line block ×5, first 2 shown]
	v_sub_f32_e32 v115, v111, v114
	v_add_f32_e32 v116, v39, v111
	v_add_f32_e32 v111, v111, v114
	;; [unrolled: 1-line block ×3, first 2 shown]
	v_sub_f32_e32 v50, v86, v88
	v_add_f32_e32 v51, v33, v86
	v_sub_f32_e32 v86, v48, v44
	v_add_f32_e32 v48, v34, v45
	v_fma_f32 v32, -0.5, v49, v32
	v_fma_f32 v33, -0.5, v85, v33
	v_sub_f32_e32 v110, v73, v74
	v_add_f32_e32 v73, v38, v77
	v_sub_f32_e32 v117, v77, v78
	v_fmamk_f32 v77, v81, 0x3f5db3d7, v40
	v_fmac_f32_e32 v40, 0xbf5db3d7, v81
	v_fmamk_f32 v81, v99, 0x3f5db3d7, v36
	v_fmac_f32_e32 v36, 0xbf5db3d7, v99
	v_sub_f32_e32 v99, v45, v46
	v_fma_f32 v34, -0.5, v87, v34
	v_fmac_f32_e32 v35, -0.5, v93
	v_fma_f32 v41, -0.5, v83, v41
	v_fma_f32 v37, -0.5, v100, v37
	;; [unrolled: 1-line block ×3, first 2 shown]
	v_fmac_f32_e32 v39, -0.5, v111
	v_add_f32_e32 v44, v47, v44
	v_add_f32_e32 v45, v51, v88
	;; [unrolled: 1-line block ×3, first 2 shown]
	v_fmamk_f32 v48, v50, 0x3f5db3d7, v32
	v_fmamk_f32 v49, v86, 0xbf5db3d7, v33
	v_fmac_f32_e32 v32, 0xbf5db3d7, v50
	v_fmac_f32_e32 v33, 0x3f5db3d7, v86
	v_add_f32_e32 v47, v94, v98
	v_fmamk_f32 v50, v92, 0x3f5db3d7, v34
	v_fmamk_f32 v51, v99, 0xbf5db3d7, v35
	v_fmac_f32_e32 v34, 0xbf5db3d7, v92
	v_fmac_f32_e32 v35, 0x3f5db3d7, v99
	v_add_f32_e32 v73, v73, v78
	v_fmamk_f32 v78, v84, 0xbf5db3d7, v41
	v_add_f32_e32 v71, v71, v74
	v_add_f32_e32 v72, v101, v109
	;; [unrolled: 1-line block ×3, first 2 shown]
	v_fmac_f32_e32 v41, 0x3f5db3d7, v84
	v_fmamk_f32 v82, v110, 0xbf5db3d7, v37
	v_fmac_f32_e32 v37, 0x3f5db3d7, v110
	v_fmamk_f32 v83, v115, 0x3f5db3d7, v38
	;; [unrolled: 2-line block ×3, first 2 shown]
	v_fmac_f32_e32 v39, 0x3f5db3d7, v117
	ds_write2_b64 v188, v[44:45], v[48:49] offset1:11
	ds_write_b64 v188, v[32:33] offset:176
	ds_write2_b64 v187, v[46:47], v[50:51] offset1:11
	ds_write_b64 v187, v[34:35] offset:176
	;; [unrolled: 2-line block ×6, first 2 shown]
	v_add_co_u32 v32, s0, s4, v91
	v_add_co_ci_u32_e64 v33, null, s5, 0, s0
	v_add_co_u32 v34, s0, s4, v95
	s_waitcnt lgkmcnt(0)
	s_barrier
	buffer_gl0_inv
	s_clause 0x3
	global_load_dwordx4 v[52:55], v75, s[4:5] offset:176
	global_load_dwordx4 v[48:51], v97, s[4:5] offset:176
	global_load_dwordx4 v[44:47], v[89:90], off offset:176
	global_load_dwordx4 v[40:43], v[32:33], off offset:176
	v_add_co_ci_u32_e64 v35, null, s5, 0, s0
	v_add_co_u32 v32, s0, s4, v96
	v_add_co_ci_u32_e64 v33, null, s5, 0, s0
	s_clause 0x1
	global_load_dwordx4 v[36:39], v[34:35], off offset:176
	global_load_dwordx4 v[32:35], v[32:33], off offset:176
	v_mov_b32_e32 v71, 0xa57f
	v_mov_b32_e32 v72, 0x63
	v_lshlrev_b32_e32 v81, 4, v180
	v_mul_u32_u24_sdwa v73, v76, v71 dst_sel:DWORD dst_unused:UNUSED_PAD src0_sel:WORD_0 src1_sel:DWORD
	v_mul_u32_u24_sdwa v74, v56, v71 dst_sel:DWORD dst_unused:UNUSED_PAD src0_sel:WORD_0 src1_sel:DWORD
	;; [unrolled: 1-line block ×5, first 2 shown]
	v_lshrrev_b32_e32 v73, 22, v73
	v_lshrrev_b32_e32 v74, 22, v74
	;; [unrolled: 1-line block ×4, first 2 shown]
	v_mul_u32_u24_sdwa v64, v64, v72 dst_sel:DWORD dst_unused:UNUSED_PAD src0_sel:WORD_0 src1_sel:DWORD
	v_mul_lo_u16 v73, 0x63, v73
	v_mul_lo_u16 v74, 0x63, v74
	v_mul_lo_u16 v75, 0x63, v75
	v_mul_lo_u16 v71, 0x63, v71
	v_add_lshl_u32 v193, v63, v66, 3
	v_sub_nc_u16 v79, v76, v73
	v_sub_nc_u16 v80, v56, v74
	;; [unrolled: 1-line block ×4, first 2 shown]
	ds_read2_b64 v[56:59], v103 offset0:82 offset1:181
	v_lshlrev_b16 v71, 4, v79
	v_lshlrev_b16 v72, 4, v80
	;; [unrolled: 1-line block ×4, first 2 shown]
	ds_read2_b64 v[60:63], v107 offset0:36 offset1:135
	v_add_lshl_u32 v194, v64, v65, 3
	v_and_b32_e32 v98, 0xffff, v71
	ds_read2_b64 v[64:67], v105 offset0:24 offset1:123
	ds_read2_b64 v[68:71], v112 offset0:106 offset1:205
	v_and_b32_e32 v99, 0xffff, v72
	v_and_b32_e32 v100, 0xffff, v73
	;; [unrolled: 1-line block ×3, first 2 shown]
	ds_read2_b64 v[72:75], v179 offset1:99
	ds_read2_b64 v[82:85], v106 offset0:70 offset1:169
	ds_read2_b64 v[86:89], v102 offset0:140 offset1:239
	;; [unrolled: 1-line block ×4, first 2 shown]
	s_waitcnt vmcnt(0) lgkmcnt(0)
	s_barrier
	buffer_gl0_inv
	v_lshlrev_b32_sdwa v198, v4, v79 dst_sel:DWORD dst_unused:UNUSED_PAD src0_sel:DWORD src1_sel:WORD_0
	v_lshlrev_b32_sdwa v195, v4, v80 dst_sel:DWORD dst_unused:UNUSED_PAD src0_sel:DWORD src1_sel:WORD_0
	v_lshlrev_b32_e32 v76, 4, v76
	v_lshlrev_b32_sdwa v197, v4, v77 dst_sel:DWORD dst_unused:UNUSED_PAD src0_sel:DWORD src1_sel:WORD_0
	v_lshlrev_b32_sdwa v196, v4, v78 dst_sel:DWORD dst_unused:UNUSED_PAD src0_sel:DWORD src1_sel:WORD_0
	v_mul_f32_e32 v109, v57, v53
	v_mul_f32_e32 v110, v56, v53
	;; [unrolled: 1-line block ×24, first 2 shown]
	v_fma_f32 v56, v56, v52, -v109
	v_fmac_f32_e32 v110, v57, v52
	v_fma_f32 v57, v60, v54, -v111
	v_fmac_f32_e32 v113, v61, v54
	;; [unrolled: 2-line block ×12, first 2 shown]
	v_add_f32_e32 v67, v56, v57
	v_add_f32_e32 v70, v110, v113
	;; [unrolled: 1-line block ×5, first 2 shown]
	v_sub_f32_e32 v91, v110, v113
	v_add_f32_e32 v69, v73, v110
	v_sub_f32_e32 v94, v115, v117
	v_add_f32_e32 v95, v75, v115
	v_add_f32_e32 v110, v59, v62
	;; [unrolled: 1-line block ×3, first 2 shown]
	v_sub_f32_e32 v92, v56, v57
	v_add_f32_e32 v71, v74, v58
	v_sub_f32_e32 v97, v58, v60
	v_add_f32_e32 v109, v82, v59
	;; [unrolled: 2-line block ×5, first 2 shown]
	v_add_f32_e32 v162, v162, v164
	v_add_f32_e32 v167, v63, v68
	v_sub_f32_e32 v169, v166, v168
	v_add_f32_e32 v171, v87, v166
	v_add_f32_e32 v166, v166, v168
	;; [unrolled: 1-line block ×3, first 2 shown]
	v_sub_f32_e32 v176, v170, v172
	v_add_f32_e32 v177, v89, v170
	v_add_f32_e32 v170, v170, v172
	v_fma_f32 v58, -0.5, v67, v72
	v_fma_f32 v59, -0.5, v70, v73
	;; [unrolled: 1-line block ×3, first 2 shown]
	v_fmac_f32_e32 v75, -0.5, v96
	v_add_f32_e32 v174, v88, v64
	v_sub_f32_e32 v178, v64, v90
	v_add_f32_e32 v56, v65, v57
	v_fma_f32 v64, -0.5, v110, v82
	v_fma_f32 v65, -0.5, v115, v83
	v_add_f32_e32 v118, v84, v61
	v_sub_f32_e32 v163, v61, v66
	v_add_f32_e32 v165, v86, v63
	v_sub_f32_e32 v173, v63, v68
	v_add_f32_e32 v57, v69, v113
	v_add_f32_e32 v60, v71, v60
	v_fma_f32 v84, -0.5, v119, v84
	v_fmac_f32_e32 v85, -0.5, v162
	v_fma_f32 v70, -0.5, v167, v86
	v_fma_f32 v71, -0.5, v166, v87
	;; [unrolled: 1-line block ×3, first 2 shown]
	v_fmac_f32_e32 v89, -0.5, v170
	v_fmamk_f32 v82, v91, 0x3f5db3d7, v58
	v_fmamk_f32 v83, v92, 0xbf5db3d7, v59
	v_fmac_f32_e32 v58, 0xbf5db3d7, v91
	v_fmac_f32_e32 v59, 0x3f5db3d7, v92
	v_add_f32_e32 v61, v95, v117
	v_fmamk_f32 v86, v94, 0x3f5db3d7, v74
	v_fmamk_f32 v87, v97, 0xbf5db3d7, v75
	v_fmac_f32_e32 v74, 0xbf5db3d7, v94
	v_fmac_f32_e32 v75, 0x3f5db3d7, v97
	v_add_f32_e32 v62, v109, v62
	v_add_f32_e32 v63, v114, v160
	;; [unrolled: 1-line block ×3, first 2 shown]
	v_fmamk_f32 v90, v111, 0x3f5db3d7, v64
	v_fmamk_f32 v91, v116, 0xbf5db3d7, v65
	v_add_f32_e32 v66, v118, v66
	v_add_f32_e32 v67, v161, v164
	;; [unrolled: 1-line block ×5, first 2 shown]
	v_fmac_f32_e32 v64, 0xbf5db3d7, v111
	v_fmac_f32_e32 v65, 0x3f5db3d7, v116
	v_fmamk_f32 v92, v159, 0x3f5db3d7, v84
	v_fmac_f32_e32 v84, 0xbf5db3d7, v159
	v_fmamk_f32 v93, v163, 0xbf5db3d7, v85
	;; [unrolled: 2-line block ×6, first 2 shown]
	v_fmac_f32_e32 v89, 0x3f5db3d7, v178
	ds_write2_b64 v194, v[56:57], v[82:83] offset1:33
	ds_write_b64 v194, v[58:59] offset:528
	ds_write2_b64 v193, v[60:61], v[86:87] offset1:33
	ds_write_b64 v193, v[74:75] offset:528
	;; [unrolled: 2-line block ×6, first 2 shown]
	v_add_co_u32 v56, s0, s4, v98
	v_add_co_ci_u32_e64 v57, null, s5, 0, s0
	v_add_co_u32 v58, s0, s4, v99
	v_add_co_ci_u32_e64 v59, null, s5, 0, s0
	s_waitcnt lgkmcnt(0)
	s_barrier
	buffer_gl0_inv
	s_clause 0x1
	global_load_dwordx4 v[72:75], v81, s[4:5] offset:704
	global_load_dwordx4 v[68:71], v[56:57], off offset:704
	v_add_co_u32 v56, s0, s4, v100
	v_add_co_ci_u32_e64 v57, null, s5, 0, s0
	global_load_dwordx4 v[64:67], v[58:59], off offset:704
	v_add_co_u32 v58, s0, s4, v101
	v_add_co_ci_u32_e64 v59, null, s5, 0, s0
	s_clause 0x1
	global_load_dwordx4 v[60:63], v[56:57], off offset:704
	global_load_dwordx4 v[56:59], v[58:59], off offset:704
	v_add_co_u32 v81, s0, s4, v81
	v_add_co_ci_u32_e64 v82, null, s5, 0, s0
	v_add_co_u32 v5, s0, s4, v5
	v_add_co_ci_u32_e64 v83, null, s5, 0, s0
	v_add_co_u32 v99, s0, 0x800, v81
	v_add_co_ci_u32_e64 v100, s0, 0, v82, s0
	v_add_co_u32 v109, s0, 0x800, v5
	v_add_co_ci_u32_e64 v110, s0, 0, v83, s0
	ds_read2_b64 v[79:82], v103 offset0:82 offset1:181
	ds_read2_b64 v[83:86], v107 offset0:36 offset1:135
	;; [unrolled: 1-line block ×4, first 2 shown]
	ds_read2_b64 v[95:98], v179 offset1:99
	ds_read2_b64 v[113:116], v106 offset0:70 offset1:169
	ds_read2_b64 v[159:162], v102 offset0:140 offset1:239
	;; [unrolled: 1-line block ×4, first 2 shown]
	v_add_co_u32 v101, s0, s4, v76
	v_add_co_ci_u32_e64 v111, null, s5, 0, s0
	v_add_nc_u32_e32 v119, 0x1000, v198
	v_add_nc_u32_e32 v171, 0x1800, v195
	;; [unrolled: 1-line block ×4, first 2 shown]
	s_waitcnt vmcnt(0) lgkmcnt(0)
	s_barrier
	buffer_gl0_inv
	v_mul_f32_e32 v4, v80, v73
	v_mul_f32_e32 v5, v79, v73
	v_mul_f32_e32 v76, v84, v75
	v_mul_f32_e32 v77, v83, v75
	v_mul_f32_e32 v78, v82, v73
	v_mul_f32_e32 v117, v81, v73
	v_mul_f32_e32 v118, v86, v75
	v_mul_f32_e32 v174, v85, v75
	v_mul_f32_e32 v175, v88, v69
	v_mul_f32_e32 v176, v87, v69
	v_mul_f32_e32 v177, v92, v71
	v_mul_f32_e32 v178, v91, v71
	v_mul_f32_e32 v199, v90, v65
	v_mul_f32_e32 v200, v89, v65
	v_mul_f32_e32 v201, v94, v67
	v_mul_f32_e32 v202, v93, v67
	v_mul_f32_e32 v203, v164, v61
	v_mul_f32_e32 v204, v163, v61
	v_mul_f32_e32 v205, v168, v63
	v_mul_f32_e32 v206, v167, v63
	v_mul_f32_e32 v207, v166, v57
	v_mul_f32_e32 v208, v165, v57
	v_mul_f32_e32 v209, v170, v59
	v_mul_f32_e32 v210, v169, v59
	v_fma_f32 v4, v79, v72, -v4
	v_fmac_f32_e32 v5, v80, v72
	v_fma_f32 v76, v83, v74, -v76
	v_fmac_f32_e32 v77, v84, v74
	;; [unrolled: 2-line block ×12, first 2 shown]
	v_add_f32_e32 v87, v95, v4
	v_add_f32_e32 v88, v4, v76
	;; [unrolled: 1-line block ×5, first 2 shown]
	v_sub_f32_e32 v163, v117, v174
	v_add_f32_e32 v164, v98, v117
	v_add_f32_e32 v117, v117, v174
	;; [unrolled: 1-line block ×4, first 2 shown]
	v_sub_f32_e32 v93, v5, v77
	v_sub_f32_e32 v94, v4, v76
	v_add_f32_e32 v92, v97, v78
	v_add_f32_e32 v177, v82, v84
	v_sub_f32_e32 v199, v200, v202
	v_add_f32_e32 v201, v116, v200
	v_add_f32_e32 v200, v200, v202
	v_add_f32_e32 v207, v83, v86
	v_sub_f32_e32 v209, v204, v206
	v_add_f32_e32 v211, v160, v204
	v_add_f32_e32 v204, v204, v206
	v_add_f32_e32 v214, v85, v90
	v_sub_f32_e32 v215, v208, v210
	v_add_f32_e32 v216, v162, v208
	v_add_f32_e32 v208, v208, v210
	v_add_f32_e32 v4, v87, v76
	v_fma_f32 v76, -0.5, v88, v95
	v_add_f32_e32 v5, v89, v77
	v_fma_f32 v77, -0.5, v91, v96
	v_sub_f32_e32 v165, v78, v79
	v_fma_f32 v97, -0.5, v118, v97
	v_fmac_f32_e32 v98, -0.5, v117
	v_add_f32_e32 v166, v113, v80
	v_sub_f32_e32 v168, v176, v178
	v_add_f32_e32 v169, v114, v176
	v_sub_f32_e32 v175, v80, v81
	;; [unrolled: 2-line block ×4, first 2 shown]
	v_fma_f32 v82, -0.5, v167, v113
	v_fma_f32 v83, -0.5, v170, v114
	v_add_f32_e32 v213, v161, v85
	v_sub_f32_e32 v217, v85, v90
	v_add_f32_e32 v78, v92, v79
	v_fma_f32 v115, -0.5, v177, v115
	v_fmac_f32_e32 v116, -0.5, v200
	v_fma_f32 v88, -0.5, v207, v159
	v_fma_f32 v89, -0.5, v204, v160
	;; [unrolled: 1-line block ×3, first 2 shown]
	v_fmac_f32_e32 v162, -0.5, v208
	v_fmamk_f32 v92, v93, 0x3f5db3d7, v76
	v_fmac_f32_e32 v76, 0xbf5db3d7, v93
	v_fmamk_f32 v93, v94, 0xbf5db3d7, v77
	v_add_f32_e32 v79, v164, v174
	v_fmac_f32_e32 v77, 0x3f5db3d7, v94
	v_fmamk_f32 v94, v163, 0x3f5db3d7, v97
	v_fmac_f32_e32 v97, 0xbf5db3d7, v163
	v_fmamk_f32 v95, v165, 0xbf5db3d7, v98
	v_fmac_f32_e32 v98, 0x3f5db3d7, v165
	v_add_f32_e32 v80, v166, v81
	v_add_f32_e32 v81, v169, v178
	v_fmamk_f32 v113, v168, 0x3f5db3d7, v82
	v_fmamk_f32 v114, v175, 0xbf5db3d7, v83
	v_fmac_f32_e32 v82, 0xbf5db3d7, v168
	v_fmac_f32_e32 v83, 0x3f5db3d7, v175
	v_add_f32_e32 v84, v176, v84
	v_add_f32_e32 v85, v201, v202
	;; [unrolled: 1-line block ×6, first 2 shown]
	v_fmamk_f32 v117, v199, 0x3f5db3d7, v115
	v_fmac_f32_e32 v115, 0xbf5db3d7, v199
	v_fmamk_f32 v118, v203, 0xbf5db3d7, v116
	v_fmac_f32_e32 v116, 0x3f5db3d7, v203
	;; [unrolled: 2-line block ×6, first 2 shown]
	ds_write2_b64 v179, v[4:5], v[92:93] offset1:99
	ds_write2_b64 v106, v[76:77], v[78:79] offset0:70 offset1:169
	ds_write2_b64 v102, v[94:95], v[97:98] offset0:140 offset1:239
	;; [unrolled: 1-line block ×3, first 2 shown]
	ds_write_b64 v198, v[82:83] offset:6336
	ds_write2_b64 v171, v[84:85], v[117:118] offset0:123 offset1:222
	ds_write_b64 v195, v[115:116] offset:8712
	ds_write2_b64 v172, v[86:87], v[159:160] offset0:36 offset1:135
	;; [unrolled: 2-line block ×3, first 2 shown]
	ds_write_b64 v196, v[161:162] offset:13464
	v_add_co_u32 v4, s0, 0x800, v101
	v_add_co_ci_u32_e64 v5, s0, 0, v111, s0
	s_waitcnt lgkmcnt(0)
	s_barrier
	buffer_gl0_inv
	s_clause 0x2
	global_load_dwordx4 v[84:87], v[99:100], off offset:240
	global_load_dwordx4 v[80:83], v[109:110], off offset:240
	global_load_dwordx4 v[76:79], v[4:5], off offset:240
	ds_read2_b64 v[88:91], v103 offset0:82 offset1:181
	ds_read2_b64 v[92:95], v107 offset0:36 offset1:135
	;; [unrolled: 1-line block ×4, first 2 shown]
	ds_read2_b64 v[159:162], v179 offset1:99
	ds_read2_b64 v[163:166], v106 offset0:70 offset1:169
	ds_read2_b64 v[167:170], v102 offset0:140 offset1:239
	;; [unrolled: 1-line block ×4, first 2 shown]
	v_add_co_u32 v111, s0, s4, v179
	v_add_co_ci_u32_e64 v119, null, s5, 0, s0
	s_waitcnt vmcnt(0) lgkmcnt(0)
	v_add_co_u32 v4, s0, 0x1800, v111
	v_add_co_ci_u32_e64 v5, s0, 0, v119, s0
	v_add_co_u32 v100, s0, 0x2000, v111
	v_add_co_ci_u32_e64 v101, s0, 0, v119, s0
	s_barrier
	buffer_gl0_inv
	v_mul_f32_e32 v109, v89, v85
	v_mul_f32_e32 v110, v88, v85
	;; [unrolled: 1-line block ×24, first 2 shown]
	v_fma_f32 v88, v88, v84, -v109
	v_fmac_f32_e32 v110, v89, v84
	v_fma_f32 v89, v90, v80, -v199
	v_fmac_f32_e32 v200, v91, v80
	;; [unrolled: 2-line block ×12, first 2 shown]
	v_add_f32_e32 v97, v159, v88
	v_add_f32_e32 v99, v88, v90
	v_sub_f32_e32 v171, v110, v118
	v_add_f32_e32 v113, v160, v110
	v_add_f32_e32 v110, v110, v118
	v_add_f32_e32 v116, v89, v92
	v_add_f32_e32 v174, v200, v202
	v_sub_f32_e32 v173, v200, v202
	v_add_f32_e32 v117, v162, v200
	v_add_f32_e32 v177, v91, v94
	;; [unrolled: 5-line block ×3, first 2 shown]
	v_sub_f32_e32 v205, v208, v210
	v_add_f32_e32 v207, v166, v208
	v_add_f32_e32 v208, v208, v210
	v_add_f32_e32 v213, v95, v109
	v_sub_f32_e32 v215, v212, v214
	v_add_f32_e32 v217, v168, v212
	v_add_f32_e32 v212, v212, v214
	v_add_f32_e32 v221, v96, v115
	;; [unrolled: 4-line block ×3, first 2 shown]
	v_add_f32_e32 v220, v169, v96
	v_sub_f32_e32 v172, v88, v90
	v_sub_f32_e32 v175, v89, v92
	v_add_f32_e32 v176, v163, v91
	v_sub_f32_e32 v201, v91, v94
	v_add_f32_e32 v88, v97, v90
	v_fma_f32 v90, -0.5, v99, v159
	v_fma_f32 v91, -0.5, v110, v160
	;; [unrolled: 1-line block ×3, first 2 shown]
	v_fmac_f32_e32 v162, -0.5, v174
	v_sub_f32_e32 v224, v96, v115
	v_fma_f32 v96, -0.5, v177, v163
	v_fma_f32 v97, -0.5, v200, v164
	v_add_f32_e32 v203, v165, v93
	v_sub_f32_e32 v209, v93, v98
	v_sub_f32_e32 v219, v95, v109
	v_add_f32_e32 v89, v113, v118
	v_add_f32_e32 v92, v114, v92
	;; [unrolled: 1-line block ×3, first 2 shown]
	v_fma_f32 v165, -0.5, v204, v165
	v_fmac_f32_e32 v166, -0.5, v208
	v_fma_f32 v113, -0.5, v213, v167
	v_fma_f32 v114, -0.5, v212, v168
	;; [unrolled: 1-line block ×3, first 2 shown]
	v_fmac_f32_e32 v170, -0.5, v216
	v_add_f32_e32 v109, v211, v109
	v_add_f32_e32 v110, v217, v214
	;; [unrolled: 1-line block ×4, first 2 shown]
	v_fmamk_f32 v117, v171, 0x3f5db3d7, v90
	v_fmac_f32_e32 v90, 0xbf5db3d7, v171
	v_fmamk_f32 v118, v172, 0xbf5db3d7, v91
	v_fmac_f32_e32 v91, 0x3f5db3d7, v172
	;; [unrolled: 2-line block ×4, first 2 shown]
	v_add_f32_e32 v94, v176, v94
	v_add_f32_e32 v95, v199, v206
	v_fmamk_f32 v163, v178, 0x3f5db3d7, v96
	v_fmamk_f32 v164, v201, 0xbf5db3d7, v97
	v_add_f32_e32 v98, v203, v98
	v_add_f32_e32 v99, v207, v210
	v_fmac_f32_e32 v96, 0xbf5db3d7, v178
	v_fmac_f32_e32 v97, 0x3f5db3d7, v201
	v_fmamk_f32 v167, v205, 0x3f5db3d7, v165
	v_fmac_f32_e32 v165, 0xbf5db3d7, v205
	v_fmamk_f32 v168, v209, 0xbf5db3d7, v166
	;; [unrolled: 2-line block ×6, first 2 shown]
	v_fmac_f32_e32 v170, 0x3f5db3d7, v224
	ds_write2_b64 v179, v[88:89], v[92:93] offset1:99
	ds_write2_b64 v104, v[109:110], v[115:116] offset0:94 offset1:193
	ds_write2_b64 v103, v[90:91], v[161:162] offset0:82 offset1:181
	;; [unrolled: 1-line block ×8, first 2 shown]
	v_add_co_u32 v88, s0, 0x2800, v111
	v_add_co_ci_u32_e64 v89, s0, 0, v119, s0
	s_waitcnt lgkmcnt(0)
	s_barrier
	buffer_gl0_inv
	s_clause 0x4
	global_load_dwordx2 v[173:174], v[4:5], off offset:896
	global_load_dwordx2 v[175:176], v[4:5], off offset:1688
	;; [unrolled: 1-line block ×5, first 2 shown]
	v_add_co_u32 v4, s0, 0x3000, v111
	v_add_co_ci_u32_e64 v5, s0, 0, v119, s0
	s_clause 0x3
	global_load_dwordx2 v[169:170], v[88:89], off offset:760
	global_load_dwordx2 v[167:168], v[88:89], off offset:1552
	;; [unrolled: 1-line block ×4, first 2 shown]
	ds_read2_b64 v[94:97], v105 offset0:24 offset1:123
	ds_read2_b64 v[88:91], v104 offset0:94 offset1:193
	;; [unrolled: 1-line block ×5, first 2 shown]
	ds_read2_b64 v[207:210], v179 offset1:99
	ds_read2_b64 v[211:214], v106 offset0:70 offset1:169
	ds_read2_b64 v[215:218], v102 offset0:140 offset1:239
	;; [unrolled: 1-line block ×3, first 2 shown]
	v_add_co_u32 v100, s0, 0x37b0, v132
	v_add_co_ci_u32_e64 v101, s0, 0, v133, s0
	s_waitcnt vmcnt(7) lgkmcnt(7)
	v_mul_f32_e32 v92, v89, v176
	v_mul_f32_e32 v93, v88, v176
	;; [unrolled: 1-line block ×4, first 2 shown]
	s_waitcnt vmcnt(6)
	v_mul_f32_e32 v98, v91, v172
	v_mul_f32_e32 v99, v90, v172
	s_waitcnt vmcnt(5) lgkmcnt(6)
	v_mul_f32_e32 v109, v114, v164
	v_mul_f32_e32 v111, v113, v164
	s_waitcnt vmcnt(4)
	v_mul_f32_e32 v110, v116, v162
	v_mul_f32_e32 v119, v115, v162
	s_waitcnt vmcnt(3) lgkmcnt(5)
	v_mul_f32_e32 v117, v200, v170
	v_mul_f32_e32 v223, v199, v170
	;; [unrolled: 6-line block ×3, first 2 shown]
	s_waitcnt vmcnt(0)
	v_mul_f32_e32 v178, v206, v160
	v_mul_f32_e32 v226, v205, v160
	v_fma_f32 v88, v88, v175, -v92
	v_fmac_f32_e32 v93, v89, v175
	v_fma_f32 v4, v96, v173, -v4
	v_fmac_f32_e32 v5, v97, v173
	;; [unrolled: 2-line block ×9, first 2 shown]
	s_waitcnt lgkmcnt(3)
	v_sub_f32_e32 v109, v207, v4
	v_sub_f32_e32 v110, v208, v5
	v_sub_f32_e32 v113, v209, v88
	v_sub_f32_e32 v114, v210, v93
	s_waitcnt lgkmcnt(2)
	v_sub_f32_e32 v115, v211, v89
	v_sub_f32_e32 v116, v212, v99
	v_sub_f32_e32 v117, v213, v90
	v_sub_f32_e32 v118, v214, v111
	;; [unrolled: 5-line block ×4, first 2 shown]
	v_sub_f32_e32 v4, v94, v199
	v_sub_f32_e32 v5, v95, v226
	v_fma_f32 v199, v207, 2.0, -v109
	v_fma_f32 v200, v208, 2.0, -v110
	;; [unrolled: 1-line block ×18, first 2 shown]
	ds_write2_b64 v104, v[113:114], v[115:116] offset0:94 offset1:193
	ds_write2_b64 v107, v[117:118], v[177:178] offset0:36 offset1:135
	;; [unrolled: 1-line block ×4, first 2 shown]
	ds_write2_b64 v179, v[199:200], v[201:202] offset1:99
	ds_write2_b64 v106, v[203:204], v[205:206] offset0:70 offset1:169
	ds_write2_b64 v102, v[207:208], v[209:210] offset0:140 offset1:239
	;; [unrolled: 1-line block ×4, first 2 shown]
	s_waitcnt lgkmcnt(0)
	s_barrier
	buffer_gl0_inv
	s_clause 0x1
	global_load_dwordx2 v[109:110], v[120:121], off offset:1968
	global_load_dwordx2 v[113:114], v[100:101], off offset:1296
	v_add_co_u32 v105, s0, 0x4000, v132
	v_add_co_ci_u32_e64 v106, s0, 0, v133, s0
	v_add_co_u32 v107, s0, 0x4800, v132
	v_add_co_ci_u32_e64 v108, s0, 0, v133, s0
	v_add_co_u32 v115, s0, 0x5000, v132
	v_add_co_ci_u32_e64 v116, s0, 0, v133, s0
	v_add_co_u32 v117, s0, 0x5800, v132
	v_add_co_ci_u32_e64 v118, s0, 0, v133, s0
	s_clause 0x1
	global_load_dwordx2 v[177:178], v[105:106], off offset:464
	global_load_dwordx2 v[207:208], v[105:106], off offset:1760
	v_add_co_u32 v105, s0, 0x6000, v132
	v_add_co_ci_u32_e64 v106, s0, 0, v133, s0
	s_clause 0x3
	global_load_dwordx2 v[209:210], v[107:108], off offset:1008
	global_load_dwordx2 v[211:212], v[115:116], off offset:256
	;; [unrolled: 1-line block ×4, first 2 shown]
	v_add_co_u32 v107, s0, 0x6800, v132
	v_add_co_ci_u32_e64 v108, s0, 0, v133, s0
	s_clause 0x2
	global_load_dwordx2 v[215:216], v[105:106], off offset:48
	global_load_dwordx2 v[217:218], v[105:106], off offset:1344
	global_load_dwordx2 v[219:220], v[107:108], off offset:592
	ds_read2_b64 v[105:108], v179 offset1:162
	s_waitcnt vmcnt(10) lgkmcnt(0)
	v_mul_f32_e32 v103, v106, v110
	v_mul_f32_e32 v111, v105, v110
	s_waitcnt vmcnt(9)
	v_mul_f32_e32 v116, v108, v114
	v_mul_f32_e32 v115, v107, v114
	v_fma_f32 v110, v105, v109, -v103
	v_fmac_f32_e32 v111, v106, v109
	v_fma_f32 v114, v107, v113, -v116
	v_fmac_f32_e32 v115, v108, v113
	v_add_nc_u32_e32 v103, 0x1400, v179
	ds_write2_b64 v179, v[110:111], v[114:115] offset1:162
	ds_read2_b64 v[105:108], v102 offset0:68 offset1:230
	ds_read2_b64 v[113:116], v103 offset0:8 offset1:170
	;; [unrolled: 1-line block ×4, first 2 shown]
	ds_read_b64 v[109:110], v179 offset:12960
	s_waitcnt vmcnt(8) lgkmcnt(4)
	v_mul_f32_e32 v111, v106, v178
	v_mul_f32_e32 v119, v105, v178
	s_waitcnt vmcnt(7)
	v_mul_f32_e32 v222, v108, v208
	v_mul_f32_e32 v178, v107, v208
	s_waitcnt vmcnt(6) lgkmcnt(3)
	v_mul_f32_e32 v223, v114, v210
	v_mul_f32_e32 v208, v113, v210
	s_waitcnt vmcnt(5)
	v_mul_f32_e32 v224, v116, v212
	v_mul_f32_e32 v210, v115, v212
	;; [unrolled: 6-line block ×4, first 2 shown]
	s_waitcnt vmcnt(0) lgkmcnt(0)
	v_mul_f32_e32 v229, v110, v220
	v_mul_f32_e32 v218, v109, v220
	v_fma_f32 v118, v105, v177, -v111
	v_fmac_f32_e32 v119, v106, v177
	v_fma_f32 v177, v107, v207, -v222
	v_fmac_f32_e32 v178, v108, v207
	;; [unrolled: 2-line block ×9, first 2 shown]
	ds_write2_b64 v102, v[118:119], v[177:178] offset0:68 offset1:230
	ds_write2_b64 v103, v[207:208], v[209:210] offset0:8 offset1:170
	;; [unrolled: 1-line block ×4, first 2 shown]
	ds_write_b64 v179, v[217:218] offset:12960
	s_and_saveexec_b32 s1, vcc_lo
	s_cbranch_execz .LBB0_9
; %bb.8:
	v_add_co_u32 v105, s0, 0x800, v100
	v_add_co_ci_u32_e64 v106, s0, 0, v101, s0
	v_add_co_u32 v107, s0, 0x1000, v100
	s_clause 0x1
	global_load_dwordx2 v[109:110], v[100:101], off offset:792
	global_load_dwordx2 v[113:114], v[105:106], off offset:40
	v_add_co_ci_u32_e64 v108, s0, 0, v101, s0
	v_add_co_u32 v115, s0, 0x1800, v100
	v_add_co_ci_u32_e64 v116, s0, 0, v101, s0
	v_add_co_u32 v117, s0, 0x2000, v100
	v_add_co_ci_u32_e64 v118, s0, 0, v101, s0
	global_load_dwordx2 v[177:178], v[105:106], off offset:1336
	v_add_co_u32 v105, s0, 0x2800, v100
	v_add_co_ci_u32_e64 v106, s0, 0, v101, s0
	v_add_co_u32 v100, s0, 0x3000, v100
	v_add_co_ci_u32_e64 v101, s0, 0, v101, s0
	s_clause 0x7
	global_load_dwordx2 v[207:208], v[107:108], off offset:584
	global_load_dwordx2 v[209:210], v[107:108], off offset:1880
	;; [unrolled: 1-line block ×8, first 2 shown]
	v_add_nc_u32_e32 v116, 0x200, v179
	v_add_nc_u32_e32 v222, 0xc00, v179
	;; [unrolled: 1-line block ×4, first 2 shown]
	ds_read2_b64 v[105:108], v116 offset0:35 offset1:197
	s_waitcnt vmcnt(10) lgkmcnt(0)
	v_mul_f32_e32 v119, v106, v110
	v_mul_f32_e32 v111, v105, v110
	s_waitcnt vmcnt(9)
	v_mul_f32_e32 v199, v108, v114
	v_mul_f32_e32 v115, v107, v114
	v_fma_f32 v110, v105, v109, -v119
	v_fmac_f32_e32 v111, v106, v109
	v_fma_f32 v114, v107, v113, -v199
	v_fmac_f32_e32 v115, v108, v113
	ds_write2_b64 v116, v[110:111], v[114:115] offset0:35 offset1:197
	v_add_nc_u32_e32 v111, 0x2000, v179
	ds_read2_b64 v[105:108], v222 offset0:39 offset1:201
	ds_read2_b64 v[113:116], v223 offset0:43 offset1:205
	;; [unrolled: 1-line block ×4, first 2 shown]
	ds_read_b64 v[109:110], v179 offset:13752
	s_waitcnt vmcnt(8) lgkmcnt(4)
	v_mul_f32_e32 v220, v106, v178
	v_mul_f32_e32 v119, v105, v178
	s_waitcnt vmcnt(7)
	v_mul_f32_e32 v225, v108, v208
	v_mul_f32_e32 v178, v107, v208
	s_waitcnt vmcnt(6) lgkmcnt(3)
	v_mul_f32_e32 v226, v114, v210
	v_mul_f32_e32 v208, v113, v210
	s_waitcnt vmcnt(5)
	v_mul_f32_e32 v227, v116, v212
	v_mul_f32_e32 v210, v115, v212
	;; [unrolled: 6-line block ×4, first 2 shown]
	s_waitcnt vmcnt(0) lgkmcnt(0)
	v_mul_f32_e32 v232, v110, v101
	v_mul_f32_e32 v221, v109, v101
	v_fma_f32 v118, v105, v177, -v220
	v_fmac_f32_e32 v119, v106, v177
	v_fma_f32 v177, v107, v207, -v225
	v_fmac_f32_e32 v178, v108, v207
	v_fma_f32 v207, v113, v209, -v226
	v_fmac_f32_e32 v208, v114, v209
	v_fma_f32 v209, v115, v211, -v227
	v_fmac_f32_e32 v210, v116, v211
	v_fma_f32 v211, v199, v213, -v228
	v_fmac_f32_e32 v212, v200, v213
	v_fma_f32 v213, v201, v117, -v229
	v_fmac_f32_e32 v214, v202, v117
	v_fma_f32 v218, v203, v215, -v230
	v_fmac_f32_e32 v219, v204, v215
	v_fma_f32 v215, v205, v217, -v231
	v_fmac_f32_e32 v216, v206, v217
	v_fma_f32 v220, v109, v100, -v232
	v_fmac_f32_e32 v221, v110, v100
	ds_write2_b64 v222, v[118:119], v[177:178] offset0:39 offset1:201
	ds_write2_b64 v223, v[207:208], v[209:210] offset0:43 offset1:205
	;; [unrolled: 1-line block ×4, first 2 shown]
	ds_write_b64 v179, v[220:221] offset:13752
.LBB0_9:
	s_or_b32 exec_lo, exec_lo, s1
	s_waitcnt lgkmcnt(0)
	s_barrier
	buffer_gl0_inv
	ds_read2_b64 v[116:119], v179 offset1:162
	ds_read2_b64 v[108:111], v102 offset0:68 offset1:230
	ds_read2_b64 v[100:103], v103 offset0:8 offset1:170
	;; [unrolled: 1-line block ×4, first 2 shown]
	ds_read_b64 v[177:178], v179 offset:12960
	s_and_saveexec_b32 s0, vcc_lo
	s_cbranch_execz .LBB0_11
; %bb.10:
	v_add_nc_u32_e32 v0, 0x200, v179
	v_add_nc_u32_e32 v1, 0xc00, v179
	;; [unrolled: 1-line block ×5, first 2 shown]
	ds_read2_b64 v[88:91], v0 offset0:35 offset1:197
	ds_read2_b64 v[96:99], v1 offset0:39 offset1:201
	;; [unrolled: 1-line block ×5, first 2 shown]
	ds_read_b64 v[157:158], v179 offset:13752
.LBB0_11:
	s_or_b32 exec_lo, exec_lo, s0
	s_waitcnt lgkmcnt(5)
	v_add_f32_e32 v199, v116, v118
	v_add_f32_e32 v200, v117, v119
	s_waitcnt lgkmcnt(0)
	v_sub_f32_e32 v202, v119, v178
	v_add_f32_e32 v203, v178, v119
	v_add_f32_e32 v201, v177, v118
	;; [unrolled: 1-line block ×4, first 2 shown]
	v_sub_f32_e32 v204, v118, v177
	v_mul_f32_e32 v118, 0xbf0a6770, v202
	v_mul_f32_e32 v205, 0xbf68dda4, v202
	v_add_f32_e32 v119, v199, v110
	v_add_f32_e32 v199, v200, v111
	v_mul_f32_e32 v206, 0x3ed4b147, v203
	v_mul_f32_e32 v207, 0xbf7d64f0, v202
	v_fmamk_f32 v209, v201, 0x3f575c64, v118
	v_add_f32_e32 v119, v119, v100
	v_add_f32_e32 v199, v199, v101
	v_fma_f32 v118, 0x3f575c64, v201, -v118
	v_fmamk_f32 v211, v201, 0x3ed4b147, v205
	v_fmamk_f32 v212, v204, 0x3f68dda4, v206
	v_add_f32_e32 v119, v119, v102
	v_add_f32_e32 v199, v199, v103
	v_fmac_f32_e32 v206, 0xbf68dda4, v204
	v_fmamk_f32 v213, v201, 0xbe11bafb, v207
	v_add_f32_e32 v214, v116, v118
	v_add_f32_e32 v119, v119, v104
	;; [unrolled: 1-line block ×3, first 2 shown]
	v_mul_f32_e32 v200, 0x3f575c64, v203
	v_mul_f32_e32 v208, 0xbe11bafb, v203
	v_sub_f32_e32 v218, v109, v115
	v_add_f32_e32 v119, v119, v106
	v_add_f32_e32 v199, v199, v107
	;; [unrolled: 1-line block ×3, first 2 shown]
	v_fmamk_f32 v210, v204, 0x3f0a6770, v200
	v_fmac_f32_e32 v200, 0xbf0a6770, v204
	v_add_f32_e32 v119, v119, v112
	v_add_f32_e32 v199, v199, v113
	v_fma_f32 v205, 0x3ed4b147, v201, -v205
	v_fma_f32 v207, 0xbe11bafb, v201, -v207
	v_add_f32_e32 v209, v116, v209
	v_add_f32_e32 v118, v119, v114
	;; [unrolled: 1-line block ×5, first 2 shown]
	v_mul_f32_e32 v212, 0xbf4178ce, v202
	v_add_f32_e32 v118, v118, v177
	v_add_f32_e32 v177, v117, v206
	;; [unrolled: 1-line block ×3, first 2 shown]
	v_mul_f32_e32 v213, 0xbf27a4f4, v203
	v_mul_f32_e32 v202, 0xbe903f40, v202
	;; [unrolled: 1-line block ×3, first 2 shown]
	v_add_f32_e32 v119, v119, v178
	v_fmamk_f32 v178, v204, 0x3f7d64f0, v208
	v_fmac_f32_e32 v208, 0xbf7d64f0, v204
	v_fmamk_f32 v215, v201, 0xbf27a4f4, v212
	v_fmamk_f32 v216, v204, 0x3f4178ce, v213
	v_fma_f32 v212, 0xbf27a4f4, v201, -v212
	v_fmac_f32_e32 v213, 0xbf4178ce, v204
	v_fmamk_f32 v217, v201, 0xbf75a155, v202
	v_fmamk_f32 v219, v204, 0x3e903f40, v203
	v_fma_f32 v201, 0xbf75a155, v201, -v202
	v_add_f32_e32 v115, v114, v108
	v_mul_f32_e32 v202, 0xbf68dda4, v218
	v_fmac_f32_e32 v203, 0xbe903f40, v204
	v_sub_f32_e32 v108, v108, v114
	v_mul_f32_e32 v114, 0x3ed4b147, v109
	v_add_f32_e32 v210, v117, v210
	v_add_f32_e32 v200, v117, v200
	;; [unrolled: 1-line block ×12, first 2 shown]
	v_fmamk_f32 v219, v115, 0x3ed4b147, v202
	v_add_f32_e32 v116, v116, v201
	v_add_f32_e32 v117, v117, v203
	v_fmamk_f32 v201, v108, 0x3f68dda4, v114
	v_mul_f32_e32 v203, 0xbf4178ce, v218
	v_fmac_f32_e32 v114, 0xbf68dda4, v108
	v_add_f32_e32 v209, v219, v209
	v_fma_f32 v202, 0x3ed4b147, v115, -v202
	v_add_f32_e32 v201, v201, v210
	v_fmamk_f32 v210, v115, 0xbf27a4f4, v203
	v_mul_f32_e32 v219, 0xbf27a4f4, v109
	v_add_f32_e32 v114, v114, v200
	v_mul_f32_e32 v200, 0x3e903f40, v218
	v_add_f32_e32 v202, v202, v214
	v_add_f32_e32 v199, v210, v199
	v_fmamk_f32 v210, v108, 0x3f4178ce, v219
	v_fma_f32 v203, 0xbf27a4f4, v115, -v203
	v_fmamk_f32 v214, v115, 0xbf75a155, v200
	v_mul_f32_e32 v220, 0xbf75a155, v109
	v_fma_f32 v200, 0xbf75a155, v115, -v200
	v_add_f32_e32 v210, v210, v211
	v_add_f32_e32 v203, v203, v205
	;; [unrolled: 1-line block ×3, first 2 shown]
	v_fmamk_f32 v206, v108, 0xbe903f40, v220
	v_mul_f32_e32 v211, 0x3f7d64f0, v218
	v_mul_f32_e32 v214, 0xbe11bafb, v109
	;; [unrolled: 1-line block ×3, first 2 shown]
	v_add_f32_e32 v200, v200, v207
	v_add_f32_e32 v178, v206, v178
	v_fmamk_f32 v206, v115, 0xbe11bafb, v211
	v_fma_f32 v211, 0xbe11bafb, v115, -v211
	v_fmamk_f32 v207, v108, 0xbf7d64f0, v214
	v_fmac_f32_e32 v214, 0x3f7d64f0, v108
	v_mul_f32_e32 v109, 0x3f575c64, v109
	v_add_f32_e32 v206, v206, v215
	v_fmamk_f32 v215, v115, 0x3f575c64, v218
	v_add_f32_e32 v211, v211, v212
	v_sub_f32_e32 v212, v111, v113
	v_add_f32_e32 v207, v207, v216
	v_add_f32_e32 v213, v214, v213
	;; [unrolled: 1-line block ×4, first 2 shown]
	v_mul_f32_e32 v217, 0xbf7d64f0, v212
	v_add_f32_e32 v111, v113, v111
	v_fmac_f32_e32 v219, 0xbf4178ce, v108
	v_fmac_f32_e32 v220, 0x3e903f40, v108
	v_fmamk_f32 v215, v108, 0xbf0a6770, v109
	v_fma_f32 v113, 0x3f575c64, v115, -v218
	v_fmac_f32_e32 v109, 0x3f0a6770, v108
	v_sub_f32_e32 v108, v110, v112
	v_fmamk_f32 v110, v216, 0xbe11bafb, v217
	v_mul_f32_e32 v112, 0xbe11bafb, v111
	v_add_f32_e32 v115, v215, v204
	v_add_f32_e32 v113, v113, v116
	;; [unrolled: 1-line block ×4, first 2 shown]
	v_fmamk_f32 v116, v108, 0x3f7d64f0, v112
	v_mul_f32_e32 v117, 0x3e903f40, v212
	v_fma_f32 v204, 0xbe11bafb, v216, -v217
	v_fmac_f32_e32 v112, 0xbf7d64f0, v108
	v_mul_f32_e32 v209, 0xbf75a155, v111
	v_add_f32_e32 v116, v116, v201
	v_fmamk_f32 v201, v216, 0xbf75a155, v117
	v_add_f32_e32 v202, v204, v202
	v_add_f32_e32 v112, v112, v114
	v_fmamk_f32 v114, v108, 0xbe903f40, v209
	v_mul_f32_e32 v204, 0x3f68dda4, v212
	v_fma_f32 v117, 0xbf75a155, v216, -v117
	v_add_f32_e32 v177, v219, v177
	v_add_f32_e32 v199, v201, v199
	v_fmac_f32_e32 v209, 0x3e903f40, v108
	v_add_f32_e32 v114, v114, v210
	v_fmamk_f32 v201, v216, 0x3ed4b147, v204
	v_mul_f32_e32 v210, 0x3ed4b147, v111
	v_add_f32_e32 v117, v117, v203
	v_mul_f32_e32 v203, 0xbf0a6770, v212
	v_add_f32_e32 v208, v220, v208
	v_add_f32_e32 v177, v209, v177
	;; [unrolled: 1-line block ×3, first 2 shown]
	v_fmamk_f32 v205, v108, 0xbf68dda4, v210
	v_fma_f32 v204, 0x3ed4b147, v216, -v204
	v_fmac_f32_e32 v210, 0x3f68dda4, v108
	v_fmamk_f32 v209, v216, 0x3f575c64, v203
	v_mul_f32_e32 v215, 0x3f575c64, v111
	v_mul_f32_e32 v111, 0xbf27a4f4, v111
	v_fma_f32 v203, 0x3f575c64, v216, -v203
	v_add_f32_e32 v178, v205, v178
	v_add_f32_e32 v200, v204, v200
	v_add_f32_e32 v204, v210, v208
	v_add_f32_e32 v205, v209, v206
	v_fmamk_f32 v206, v108, 0x3f0a6770, v215
	v_mul_f32_e32 v208, 0xbf4178ce, v212
	v_fmamk_f32 v209, v108, 0x3f4178ce, v111
	v_add_f32_e32 v203, v203, v211
	v_sub_f32_e32 v211, v101, v107
	v_add_f32_e32 v101, v107, v101
	v_add_f32_e32 v206, v206, v207
	v_fmamk_f32 v207, v216, 0xbf27a4f4, v208
	v_add_f32_e32 v115, v209, v115
	v_add_f32_e32 v209, v106, v100
	v_mul_f32_e32 v107, 0xbf4178ce, v211
	v_fma_f32 v208, 0xbf27a4f4, v216, -v208
	v_fmac_f32_e32 v111, 0xbf4178ce, v108
	v_sub_f32_e32 v100, v100, v106
	v_mul_f32_e32 v106, 0xbf27a4f4, v101
	v_fmac_f32_e32 v215, 0xbf0a6770, v108
	v_fmamk_f32 v108, v209, 0xbf27a4f4, v107
	v_add_f32_e32 v113, v208, v113
	v_add_f32_e32 v109, v111, v109
	v_mul_f32_e32 v111, 0x3f7d64f0, v211
	v_fmamk_f32 v208, v100, 0x3f4178ce, v106
	v_fmac_f32_e32 v106, 0xbf4178ce, v100
	v_add_f32_e32 v108, v108, v110
	v_fma_f32 v107, 0xbf27a4f4, v209, -v107
	v_fmamk_f32 v110, v209, 0xbe11bafb, v111
	v_add_f32_e32 v116, v208, v116
	v_mul_f32_e32 v208, 0xbe11bafb, v101
	v_add_f32_e32 v106, v106, v112
	v_mul_f32_e32 v112, 0xbf0a6770, v211
	v_add_f32_e32 v107, v107, v202
	v_add_f32_e32 v110, v110, v199
	v_fmamk_f32 v199, v100, 0xbf7d64f0, v208
	v_fma_f32 v111, 0xbe11bafb, v209, -v111
	v_fmac_f32_e32 v208, 0x3f7d64f0, v100
	v_mul_f32_e32 v202, 0x3f575c64, v101
	v_fmamk_f32 v212, v209, 0x3f575c64, v112
	v_add_f32_e32 v114, v199, v114
	v_add_f32_e32 v111, v111, v117
	;; [unrolled: 1-line block ×3, first 2 shown]
	v_fmamk_f32 v177, v100, 0x3f0a6770, v202
	v_add_f32_e32 v199, v212, v201
	v_mul_f32_e32 v201, 0xbe903f40, v211
	v_fma_f32 v112, 0x3f575c64, v209, -v112
	v_fmac_f32_e32 v202, 0xbf0a6770, v100
	v_add_f32_e32 v177, v177, v178
	v_mul_f32_e32 v178, 0xbf75a155, v101
	v_fmamk_f32 v208, v209, 0xbf75a155, v201
	v_add_f32_e32 v112, v112, v200
	v_add_f32_e32 v200, v202, v204
	v_mul_f32_e32 v202, 0x3f68dda4, v211
	v_fmamk_f32 v204, v100, 0x3e903f40, v178
	v_add_f32_e32 v207, v207, v214
	v_add_f32_e32 v205, v208, v205
	v_fma_f32 v201, 0xbf75a155, v209, -v201
	v_fmamk_f32 v208, v209, 0x3ed4b147, v202
	v_add_f32_e32 v204, v204, v206
	v_sub_f32_e32 v206, v103, v105
	v_add_f32_e32 v210, v215, v213
	v_fmac_f32_e32 v178, 0xbe903f40, v100
	v_mul_f32_e32 v101, 0x3ed4b147, v101
	v_add_f32_e32 v201, v201, v203
	v_add_f32_e32 v203, v208, v207
	;; [unrolled: 1-line block ×3, first 2 shown]
	v_fma_f32 v202, 0x3ed4b147, v209, -v202
	v_add_f32_e32 v209, v104, v102
	v_mul_f32_e32 v103, 0xbe903f40, v206
	v_add_f32_e32 v178, v178, v210
	v_fmamk_f32 v207, v100, 0xbf68dda4, v101
	v_fmac_f32_e32 v101, 0x3f68dda4, v100
	v_sub_f32_e32 v210, v102, v104
	v_mul_f32_e32 v104, 0xbf75a155, v208
	v_fmamk_f32 v100, v209, 0xbf75a155, v103
	v_mul_f32_e32 v105, 0x3f0a6770, v206
	v_add_f32_e32 v211, v101, v109
	v_mul_f32_e32 v109, 0x3f575c64, v208
	v_fmamk_f32 v101, v210, 0x3e903f40, v104
	v_fmac_f32_e32 v104, 0xbe903f40, v210
	v_add_f32_e32 v202, v202, v113
	v_add_f32_e32 v100, v100, v108
	v_fma_f32 v102, 0xbf75a155, v209, -v103
	v_fmamk_f32 v108, v209, 0x3f575c64, v105
	v_mul_f32_e32 v113, 0xbf4178ce, v206
	v_add_f32_e32 v103, v104, v106
	v_fmamk_f32 v106, v210, 0xbf0a6770, v109
	v_add_f32_e32 v207, v207, v115
	v_add_f32_e32 v102, v102, v107
	;; [unrolled: 1-line block ×3, first 2 shown]
	v_fma_f32 v107, 0x3f575c64, v209, -v105
	v_fmac_f32_e32 v109, 0x3f0a6770, v210
	v_fmamk_f32 v108, v209, 0xbf27a4f4, v113
	v_mul_f32_e32 v115, 0xbf27a4f4, v208
	v_add_f32_e32 v105, v106, v114
	v_mul_f32_e32 v114, 0x3f68dda4, v206
	v_add_f32_e32 v101, v101, v116
	v_add_f32_e32 v106, v107, v111
	;; [unrolled: 1-line block ×4, first 2 shown]
	v_fmamk_f32 v109, v210, 0x3f4178ce, v115
	v_fmac_f32_e32 v115, 0xbf4178ce, v210
	v_mul_f32_e32 v116, 0x3ed4b147, v208
	v_mul_f32_e32 v117, 0xbf7d64f0, v206
	;; [unrolled: 1-line block ×3, first 2 shown]
	v_fma_f32 v110, 0xbf27a4f4, v209, -v113
	v_fmamk_f32 v113, v209, 0x3ed4b147, v114
	v_fma_f32 v114, 0x3ed4b147, v209, -v114
	v_add_f32_e32 v109, v109, v177
	v_add_f32_e32 v111, v115, v200
	v_fmamk_f32 v115, v210, 0xbf68dda4, v116
	v_fmac_f32_e32 v116, 0x3f68dda4, v210
	v_fmamk_f32 v177, v209, 0xbe11bafb, v117
	v_fmamk_f32 v200, v210, 0x3f7d64f0, v199
	v_add_f32_e32 v114, v114, v201
	v_fma_f32 v201, 0xbe11bafb, v209, -v117
	v_fmac_f32_e32 v199, 0xbf7d64f0, v210
	v_add_f32_e32 v110, v110, v112
	v_add_f32_e32 v112, v113, v205
	v_add_f32_e32 v113, v115, v204
	v_add_f32_e32 v115, v116, v178
	v_add_f32_e32 v116, v177, v203
	v_add_f32_e32 v117, v200, v207
	v_add_f32_e32 v177, v201, v202
	v_add_f32_e32 v178, v199, v211
	s_barrier
	buffer_gl0_inv
	ds_write2_b64 v182, v[118:119], v[100:101] offset1:1
	ds_write2_b64 v182, v[104:105], v[108:109] offset0:2 offset1:3
	ds_write2_b64 v182, v[112:113], v[116:117] offset0:4 offset1:5
	;; [unrolled: 1-line block ×4, first 2 shown]
	ds_write_b64 v182, v[102:103] offset:80
	s_and_saveexec_b32 s0, vcc_lo
	s_cbranch_execz .LBB0_13
; %bb.12:
	v_add_f32_e32 v104, v158, v91
	v_sub_f32_e32 v108, v90, v157
	v_add_f32_e32 v106, v3, v97
	v_sub_f32_e32 v109, v96, v2
	v_add_f32_e32 v107, v1, v99
	v_mul_f32_e32 v110, 0xbf75a155, v104
	v_sub_f32_e32 v116, v91, v158
	v_mul_f32_e32 v114, 0x3f575c64, v106
	v_sub_f32_e32 v111, v98, v0
	v_add_f32_e32 v115, v157, v90
	v_fmamk_f32 v100, v108, 0x3e903f40, v110
	v_mul_f32_e32 v117, 0xbf27a4f4, v107
	v_fmamk_f32 v101, v109, 0xbf0a6770, v114
	v_sub_f32_e32 v118, v97, v3
	v_mul_f32_e32 v177, 0xbe903f40, v116
	v_add_f32_e32 v100, v89, v100
	v_add_f32_e32 v112, v7, v93
	v_fmamk_f32 v102, v111, 0x3f4178ce, v117
	v_add_f32_e32 v178, v2, v96
	v_mul_f32_e32 v182, 0x3f0a6770, v118
	v_add_f32_e32 v100, v101, v100
	v_fmamk_f32 v101, v115, 0xbf75a155, v177
	v_sub_f32_e32 v199, v99, v1
	v_sub_f32_e32 v113, v92, v6
	v_mul_f32_e32 v119, 0x3ed4b147, v112
	v_add_f32_e32 v100, v102, v100
	v_add_f32_e32 v200, v5, v95
	;; [unrolled: 1-line block ×3, first 2 shown]
	v_fmamk_f32 v102, v178, 0x3f575c64, v182
	v_add_f32_e32 v201, v0, v98
	v_mul_f32_e32 v202, 0xbf4178ce, v199
	v_sub_f32_e32 v204, v93, v7
	v_fmamk_f32 v103, v113, 0xbf68dda4, v119
	v_mul_f32_e32 v203, 0xbe11bafb, v200
	v_sub_f32_e32 v205, v94, v4
	v_add_f32_e32 v101, v102, v101
	v_fmamk_f32 v102, v201, 0xbf27a4f4, v202
	v_add_f32_e32 v206, v6, v92
	v_mul_f32_e32 v207, 0x3f68dda4, v204
	v_add_f32_e32 v100, v103, v100
	v_fmamk_f32 v103, v205, 0x3f7d64f0, v203
	v_add_f32_e32 v102, v102, v101
	v_mul_f32_e32 v208, 0xbf27a4f4, v104
	v_fmamk_f32 v105, v206, 0x3ed4b147, v207
	v_mul_f32_e32 v210, 0xbe11bafb, v106
	v_add_f32_e32 v101, v103, v100
	v_mul_f32_e32 v213, 0xbf4178ce, v116
	v_mul_f32_e32 v214, 0x3f575c64, v107
	v_add_f32_e32 v100, v105, v102
	v_fmamk_f32 v102, v108, 0x3f4178ce, v208
	v_fmamk_f32 v103, v109, 0xbf7d64f0, v210
	v_fmamk_f32 v215, v115, 0xbf27a4f4, v213
	v_mul_f32_e32 v216, 0x3f7d64f0, v118
	v_sub_f32_e32 v209, v95, v5
	v_add_f32_e32 v102, v89, v102
	v_mul_f32_e32 v217, 0xbf75a155, v112
	v_add_f32_e32 v215, v88, v215
	v_fmamk_f32 v218, v178, 0xbe11bafb, v216
	v_mul_f32_e32 v219, 0xbf0a6770, v199
	v_add_f32_e32 v102, v103, v102
	v_fmamk_f32 v103, v111, 0x3f0a6770, v214
	v_add_f32_e32 v211, v4, v94
	v_mul_f32_e32 v212, 0xbf7d64f0, v209
	v_mul_f32_e32 v220, 0x3ed4b147, v200
	v_add_f32_e32 v215, v218, v215
	v_add_f32_e32 v102, v103, v102
	v_fmamk_f32 v103, v113, 0x3e903f40, v217
	v_fmamk_f32 v218, v201, 0x3f575c64, v219
	v_mul_f32_e32 v221, 0xbe903f40, v204
	v_fmamk_f32 v105, v211, 0xbe11bafb, v212
	v_mul_f32_e32 v222, 0xbe11bafb, v104
	v_add_f32_e32 v102, v103, v102
	v_fmamk_f32 v103, v205, 0xbf68dda4, v220
	v_add_f32_e32 v215, v218, v215
	v_fmamk_f32 v218, v206, 0xbf75a155, v221
	v_add_f32_e32 v100, v105, v100
	v_mul_f32_e32 v223, 0xbf75a155, v106
	v_add_f32_e32 v103, v103, v102
	v_fmamk_f32 v102, v108, 0x3f7d64f0, v222
	v_add_f32_e32 v105, v218, v215
	v_mul_f32_e32 v218, 0xbf7d64f0, v116
	v_fmamk_f32 v224, v109, 0xbe903f40, v223
	v_mul_f32_e32 v225, 0x3ed4b147, v107
	v_add_f32_e32 v102, v89, v102
	v_mul_f32_e32 v228, 0x3e903f40, v118
	v_fmamk_f32 v227, v115, 0xbe11bafb, v218
	v_mul_f32_e32 v229, 0x3f575c64, v112
	v_mul_f32_e32 v231, 0x3f68dda4, v199
	v_add_f32_e32 v102, v224, v102
	v_fmamk_f32 v224, v111, 0xbf68dda4, v225
	v_add_f32_e32 v227, v88, v227
	v_fmamk_f32 v230, v178, 0xbf75a155, v228
	v_add_f32_e32 v91, v91, v89
	v_add_f32_e32 v90, v90, v88
	v_mul_f32_e32 v215, 0x3f68dda4, v209
	v_add_f32_e32 v102, v224, v102
	v_fmamk_f32 v224, v113, 0x3f0a6770, v229
	v_mul_f32_e32 v232, 0xbf27a4f4, v200
	v_add_f32_e32 v227, v230, v227
	v_fmamk_f32 v230, v201, 0x3ed4b147, v231
	v_mul_f32_e32 v233, 0xbf0a6770, v204
	v_add_f32_e32 v91, v97, v91
	v_add_f32_e32 v90, v96, v90
	v_fmamk_f32 v226, v211, 0x3ed4b147, v215
	v_add_f32_e32 v224, v224, v102
	v_fmamk_f32 v235, v205, 0x3f4178ce, v232
	;; [unrolled: 2-line block ×3, first 2 shown]
	v_add_f32_e32 v91, v99, v91
	v_add_f32_e32 v90, v98, v90
	;; [unrolled: 1-line block ×5, first 2 shown]
	v_mul_f32_e32 v227, 0xbf68dda4, v116
	v_mul_f32_e32 v116, 0xbf0a6770, v116
	v_add_f32_e32 v91, v93, v91
	v_add_f32_e32 v90, v92, v90
	v_mul_f32_e32 v97, 0xbf68dda4, v118
	v_mul_f32_e32 v99, 0xbf7d64f0, v199
	v_fmamk_f32 v96, v115, 0x3f575c64, v116
	v_add_f32_e32 v91, v95, v91
	v_add_f32_e32 v90, v94, v90
	v_fmamk_f32 v98, v178, 0x3ed4b147, v97
	v_fmac_f32_e32 v110, 0xbe903f40, v108
	v_add_f32_e32 v96, v88, v96
	v_add_f32_e32 v5, v5, v91
	v_add_f32_e32 v4, v4, v90
	v_mul_f32_e32 v234, 0x3ed4b147, v104
	v_mul_f32_e32 v95, 0xbf4178ce, v204
	v_add_f32_e32 v93, v98, v96
	v_fmamk_f32 v96, v201, 0xbe11bafb, v99
	v_add_f32_e32 v5, v7, v5
	v_add_f32_e32 v4, v6, v4
	;; [unrolled: 1-line block ×3, first 2 shown]
	v_fmac_f32_e32 v114, 0x3f0a6770, v109
	v_fmamk_f32 v226, v108, 0x3f68dda4, v234
	v_mul_f32_e32 v236, 0xbf27a4f4, v106
	v_add_f32_e32 v93, v96, v93
	v_fmamk_f32 v90, v206, 0xbf27a4f4, v95
	v_mul_f32_e32 v96, 0xbe903f40, v209
	v_add_f32_e32 v5, v1, v5
	v_add_f32_e32 v4, v0, v4
	;; [unrolled: 1-line block ×3, first 2 shown]
	v_fmac_f32_e32 v117, 0xbf4178ce, v111
	v_add_f32_e32 v226, v89, v226
	v_fmamk_f32 v230, v109, 0x3f4178ce, v236
	v_mul_f32_e32 v235, 0xbf75a155, v107
	v_add_f32_e32 v7, v90, v93
	v_fmamk_f32 v90, v211, 0xbf75a155, v96
	v_add_f32_e32 v3, v3, v5
	v_add_f32_e32 v2, v2, v4
	v_add_f32_e32 v4, v117, v6
	v_fmac_f32_e32 v119, 0x3f68dda4, v113
	v_fma_f32 v5, 0xbf75a155, v115, -v177
	v_add_f32_e32 v226, v230, v226
	v_fmamk_f32 v230, v111, 0xbe903f40, v235
	v_mul_f32_e32 v240, 0xbe11bafb, v112
	v_add_f32_e32 v0, v90, v7
	v_fmac_f32_e32 v208, 0xbf4178ce, v108
	v_add_f32_e32 v4, v119, v4
	v_fmac_f32_e32 v203, 0xbf7d64f0, v205
	v_add_f32_e32 v6, v88, v5
	v_fma_f32 v7, 0x3f575c64, v178, -v182
	v_fmamk_f32 v238, v115, 0x3ed4b147, v227
	v_mul_f32_e32 v239, 0xbf4178ce, v118
	v_add_f32_e32 v226, v230, v226
	v_fmamk_f32 v230, v113, 0xbf7d64f0, v240
	v_add_f32_e32 v90, v89, v208
	v_fmac_f32_e32 v210, 0x3f7d64f0, v109
	v_add_f32_e32 v5, v203, v4
	v_fma_f32 v4, 0xbf27a4f4, v115, -v213
	v_add_f32_e32 v6, v7, v6
	v_fma_f32 v7, 0xbf27a4f4, v201, -v202
	v_add_f32_e32 v238, v88, v238
	v_fmamk_f32 v241, v178, 0xbf27a4f4, v239
	v_mul_f32_e32 v242, 0x3e903f40, v199
	v_add_f32_e32 v226, v230, v226
	v_mul_f32_e32 v230, 0x3f575c64, v104
	v_add_f32_e32 v90, v210, v90
	v_fmac_f32_e32 v214, 0xbf0a6770, v111
	v_add_f32_e32 v4, v88, v4
	v_fma_f32 v91, 0xbe11bafb, v178, -v216
	v_add_f32_e32 v6, v7, v6
	v_fma_f32 v7, 0x3ed4b147, v206, -v207
	v_mul_f32_e32 v237, 0xbf4178ce, v209
	v_add_f32_e32 v238, v241, v238
	v_fmamk_f32 v241, v201, 0xbf75a155, v242
	v_mul_f32_e32 v244, 0x3f7d64f0, v204
	v_mul_f32_e32 v245, 0x3f575c64, v200
	v_fmamk_f32 v246, v108, 0x3f0a6770, v230
	v_mul_f32_e32 v247, 0x3ed4b147, v106
	v_add_f32_e32 v90, v214, v90
	v_fmac_f32_e32 v217, 0xbe903f40, v113
	v_add_f32_e32 v4, v91, v4
	v_fma_f32 v91, 0x3f575c64, v201, -v219
	v_add_f32_e32 v6, v7, v6
	v_fma_f32 v7, 0xbe11bafb, v211, -v212
	v_fmamk_f32 v243, v211, 0xbf27a4f4, v237
	v_add_f32_e32 v104, v241, v238
	v_fmamk_f32 v238, v206, 0xbe11bafb, v244
	v_fmamk_f32 v106, v205, 0xbf0a6770, v245
	v_add_f32_e32 v246, v89, v246
	v_fmamk_f32 v249, v109, 0x3f68dda4, v247
	v_mul_f32_e32 v250, 0xbe11bafb, v107
	v_add_f32_e32 v90, v217, v90
	v_fmac_f32_e32 v220, 0x3f68dda4, v205
	v_add_f32_e32 v91, v91, v4
	v_fma_f32 v93, 0xbf75a155, v206, -v221
	v_add_f32_e32 v4, v7, v6
	v_fma_f32 v6, 0xbe11bafb, v115, -v218
	v_add_f32_e32 v238, v238, v104
	v_add_f32_e32 v104, v243, v224
	;; [unrolled: 1-line block ×4, first 2 shown]
	v_fmamk_f32 v226, v111, 0x3f7d64f0, v250
	v_mul_f32_e32 v112, 0xbf27a4f4, v112
	v_add_f32_e32 v7, v220, v90
	v_add_f32_e32 v90, v93, v91
	;; [unrolled: 1-line block ×3, first 2 shown]
	v_fma_f32 v93, 0xbf75a155, v178, -v228
	v_fmac_f32_e32 v234, 0xbf68dda4, v108
	v_add_f32_e32 v224, v226, v224
	v_fmamk_f32 v226, v113, 0x3f4178ce, v112
	v_mul_f32_e32 v92, 0xbf75a155, v200
	v_add_f32_e32 v6, v93, v6
	v_fma_f32 v93, 0x3ed4b147, v201, -v231
	v_add_f32_e32 v98, v89, v234
	v_fmac_f32_e32 v236, 0xbf4178ce, v109
	v_add_f32_e32 v118, v226, v224
	v_fmamk_f32 v94, v205, 0x3e903f40, v92
	v_add_f32_e32 v6, v93, v6
	v_fma_f32 v93, 0x3f575c64, v206, -v233
	v_add_f32_e32 v98, v236, v98
	v_fmac_f32_e32 v235, 0x3e903f40, v111
	v_add_f32_e32 v1, v94, v118
	v_fma_f32 v94, 0x3ed4b147, v211, -v215
	v_add_f32_e32 v93, v93, v6
	v_fma_f32 v110, 0xbf27a4f4, v211, -v237
	v_add_f32_e32 v98, v235, v98
	v_fmac_f32_e32 v240, 0x3f7d64f0, v113
	v_fmac_f32_e32 v222, 0xbf7d64f0, v108
	v_add_f32_e32 v6, v94, v90
	v_add_f32_e32 v90, v110, v93
	v_fma_f32 v93, 0x3ed4b147, v115, -v227
	v_add_f32_e32 v94, v240, v98
	v_fmac_f32_e32 v230, 0xbf0a6770, v108
	v_fma_f32 v98, 0x3f575c64, v115, -v116
	v_add_f32_e32 v91, v89, v222
	v_fmac_f32_e32 v223, 0x3e903f40, v109
	v_add_f32_e32 v93, v88, v93
	v_fma_f32 v108, 0xbf27a4f4, v178, -v239
	v_add_f32_e32 v89, v89, v230
	v_fmac_f32_e32 v247, 0xbf68dda4, v109
	v_add_f32_e32 v88, v88, v98
	;; [unrolled: 4-line block ×4, first 2 shown]
	v_fma_f32 v97, 0xbe11bafb, v201, -v99
	v_mul_f32_e32 v241, 0x3f0a6770, v209
	v_add_f32_e32 v91, v225, v91
	v_fmac_f32_e32 v229, 0xbf0a6770, v113
	v_add_f32_e32 v93, v98, v93
	v_fma_f32 v98, 0xbe11bafb, v206, -v244
	v_add_f32_e32 v89, v250, v89
	v_fmac_f32_e32 v112, 0xbf4178ce, v113
	v_add_f32_e32 v88, v97, v88
	v_fma_f32 v95, 0xbf27a4f4, v206, -v95
	v_fmamk_f32 v248, v211, 0x3f575c64, v241
	v_add_f32_e32 v91, v229, v91
	v_fmac_f32_e32 v232, 0xbf4178ce, v205
	v_fmac_f32_e32 v245, 0x3f0a6770, v205
	v_add_f32_e32 v93, v98, v93
	v_fma_f32 v97, 0x3f575c64, v211, -v241
	v_add_f32_e32 v3, v158, v3
	v_add_f32_e32 v2, v157, v2
	;; [unrolled: 1-line block ×3, first 2 shown]
	v_fmac_f32_e32 v92, 0xbe903f40, v205
	v_add_f32_e32 v95, v95, v88
	v_fma_f32 v96, 0xbf75a155, v211, -v96
	v_lshlrev_b32_e32 v99, 3, v181
	v_add_f32_e32 v106, v248, v238
	v_add_f32_e32 v91, v232, v91
	;; [unrolled: 1-line block ×6, first 2 shown]
	ds_write2_b64 v99, v[2:3], v[0:1] offset1:1
	ds_write2_b64 v99, v[106:107], v[104:105] offset0:2 offset1:3
	ds_write2_b64 v99, v[102:103], v[100:101] offset0:4 offset1:5
	;; [unrolled: 1-line block ×4, first 2 shown]
	ds_write_b64 v99, v[92:93] offset:80
.LBB0_13:
	s_or_b32 exec_lo, exec_lo, s0
	v_add_nc_u32_e32 v3, 0x1000, v179
	v_add_nc_u32_e32 v5, 0x2400, v179
	v_add_nc_u32_e32 v4, 0x1800, v179
	s_waitcnt lgkmcnt(0)
	s_barrier
	buffer_gl0_inv
	ds_read2_b64 v[88:91], v3 offset0:82 offset1:181
	ds_read2_b64 v[92:95], v5 offset0:36 offset1:135
	ds_read2_b64 v[96:99], v179 offset1:99
	v_add_nc_u32_e32 v7, 0x400, v179
	v_add_nc_u32_e32 v0, 0x2800, v179
	;; [unrolled: 1-line block ×5, first 2 shown]
	ds_read2_b64 v[100:103], v4 offset0:24 offset1:123
	ds_read2_b64 v[104:107], v7 offset0:70 offset1:169
	;; [unrolled: 1-line block ×6, first 2 shown]
	s_waitcnt lgkmcnt(0)
	s_barrier
	buffer_gl0_inv
	s_mov_b32 s4, 0x7210aa18
	s_mov_b32 s5, 0x3f426369
	s_mul_hi_u32 s1, s8, 0xa2
	v_mul_f32_e32 v157, v29, v89
	v_mul_f32_e32 v29, v29, v88
	v_mul_f32_e32 v158, v31, v93
	v_mul_f32_e32 v31, v31, v92
	v_mul_f32_e32 v177, v25, v91
	v_mul_f32_e32 v25, v25, v90
	v_mul_f32_e32 v178, v27, v95
	v_mul_f32_e32 v27, v27, v94
	v_fmac_f32_e32 v157, v28, v88
	v_fma_f32 v28, v28, v89, -v29
	v_fmac_f32_e32 v158, v30, v92
	v_fma_f32 v29, v30, v93, -v31
	;; [unrolled: 2-line block ×3, first 2 shown]
	v_mul_f32_e32 v25, v21, v101
	v_fmac_f32_e32 v178, v26, v94
	v_mul_f32_e32 v21, v21, v100
	v_fma_f32 v26, v26, v95, -v27
	v_mul_f32_e32 v93, v9, v119
	v_mul_f32_e32 v9, v9, v118
	;; [unrolled: 1-line block ×4, first 2 shown]
	v_fmac_f32_e32 v25, v20, v100
	v_fma_f32 v21, v20, v101, -v21
	v_mul_f32_e32 v89, v13, v117
	v_mul_f32_e32 v13, v13, v116
	;; [unrolled: 1-line block ×4, first 2 shown]
	v_fmac_f32_e32 v93, v8, v118
	v_fma_f32 v100, v8, v119, -v9
	v_add_f32_e32 v8, v157, v158
	v_add_f32_e32 v9, v96, v157
	v_fma_f32 v101, v10, v202, -v11
	v_add_f32_e32 v11, v28, v29
	v_fma_f32 v92, v12, v117, -v13
	v_fmac_f32_e32 v91, v14, v199
	v_fma_f32 v94, v14, v200, -v15
	v_fmac_f32_e32 v95, v10, v201
	v_fma_f32 v8, -0.5, v8, v96
	v_sub_f32_e32 v13, v28, v29
	v_add_f32_e32 v10, v9, v158
	v_add_f32_e32 v14, v97, v28
	v_fma_f32 v9, -0.5, v11, v97
	v_sub_f32_e32 v15, v157, v158
	v_mul_f32_e32 v27, v23, v109
	v_mul_f32_e32 v23, v23, v108
	;; [unrolled: 1-line block ×6, first 2 shown]
	v_fmac_f32_e32 v89, v12, v116
	v_fmamk_f32 v12, v13, 0xbf5db3d7, v8
	v_fmac_f32_e32 v8, 0x3f5db3d7, v13
	v_add_f32_e32 v11, v14, v29
	v_add_f32_e32 v14, v177, v178
	v_fmamk_f32 v13, v15, 0x3f5db3d7, v9
	v_fmac_f32_e32 v9, 0xbf5db3d7, v15
	v_add_f32_e32 v15, v24, v26
	v_fmac_f32_e32 v27, v22, v108
	v_fma_f32 v23, v22, v109, -v23
	v_fmac_f32_e32 v30, v16, v102
	v_fma_f32 v88, v16, v103, -v17
	;; [unrolled: 2-line block ×3, first 2 shown]
	v_add_f32_e32 v16, v98, v177
	v_fma_f32 v98, -0.5, v14, v98
	v_sub_f32_e32 v17, v24, v26
	v_add_f32_e32 v18, v99, v24
	v_fmac_f32_e32 v99, -0.5, v15
	v_sub_f32_e32 v19, v177, v178
	v_add_f32_e32 v14, v16, v178
	v_fmamk_f32 v16, v17, 0xbf5db3d7, v98
	v_fmac_f32_e32 v98, 0x3f5db3d7, v17
	v_add_f32_e32 v15, v18, v26
	v_add_f32_e32 v18, v25, v27
	v_fmamk_f32 v17, v19, 0x3f5db3d7, v99
	v_fmac_f32_e32 v99, 0xbf5db3d7, v19
	v_add_f32_e32 v19, v21, v23
	v_add_f32_e32 v20, v104, v25
	v_fma_f32 v18, -0.5, v18, v104
	v_sub_f32_e32 v24, v21, v23
	v_add_f32_e32 v21, v105, v21
	v_fma_f32 v19, -0.5, v19, v105
	v_sub_f32_e32 v25, v25, v27
	v_add_f32_e32 v20, v20, v27
	v_fmamk_f32 v22, v24, 0xbf5db3d7, v18
	v_fmac_f32_e32 v18, 0x3f5db3d7, v24
	v_add_f32_e32 v21, v21, v23
	v_add_f32_e32 v24, v30, v31
	v_fmamk_f32 v23, v25, 0x3f5db3d7, v19
	v_fmac_f32_e32 v19, 0xbf5db3d7, v25
	v_add_f32_e32 v25, v88, v90
	v_add_f32_e32 v26, v106, v30
	v_fma_f32 v106, -0.5, v24, v106
	v_sub_f32_e32 v27, v88, v90
	v_add_f32_e32 v28, v107, v88
	v_fmac_f32_e32 v107, -0.5, v25
	v_sub_f32_e32 v29, v30, v31
	v_add_f32_e32 v24, v26, v31
	v_fmamk_f32 v26, v27, 0xbf5db3d7, v106
	v_fmac_f32_e32 v106, 0x3f5db3d7, v27
	v_add_f32_e32 v25, v28, v90
	v_add_f32_e32 v28, v89, v91
	v_fmamk_f32 v27, v29, 0x3f5db3d7, v107
	v_add_f32_e32 v30, v112, v89
	v_fmac_f32_e32 v107, 0xbf5db3d7, v29
	v_add_f32_e32 v29, v92, v94
	v_fma_f32 v28, -0.5, v28, v112
	v_sub_f32_e32 v31, v92, v94
	v_add_f32_e32 v30, v30, v91
	v_add_f32_e32 v90, v113, v92
	v_fma_f32 v29, -0.5, v29, v113
	v_sub_f32_e32 v91, v89, v91
	v_fmamk_f32 v88, v31, 0xbf5db3d7, v28
	v_fmac_f32_e32 v28, 0x3f5db3d7, v31
	v_add_f32_e32 v31, v90, v94
	v_add_f32_e32 v90, v93, v95
	v_fmamk_f32 v89, v91, 0x3f5db3d7, v29
	v_fmac_f32_e32 v29, 0xbf5db3d7, v91
	v_add_f32_e32 v91, v100, v101
	v_add_f32_e32 v92, v114, v93
	;; [unrolled: 1-line block ×3, first 2 shown]
	v_fma_f32 v114, -0.5, v90, v114
	v_sub_f32_e32 v94, v100, v101
	v_fmac_f32_e32 v115, -0.5, v91
	v_sub_f32_e32 v97, v93, v95
	v_add_f32_e32 v90, v92, v95
	v_add_f32_e32 v91, v96, v101
	v_fmamk_f32 v92, v94, 0xbf5db3d7, v114
	v_fmac_f32_e32 v114, 0x3f5db3d7, v94
	v_fmamk_f32 v93, v97, 0x3f5db3d7, v115
	v_fmac_f32_e32 v115, 0xbf5db3d7, v97
	ds_write2_b64 v188, v[10:11], v[12:13] offset1:11
	ds_write_b64 v188, v[8:9] offset:176
	ds_write2_b64 v187, v[14:15], v[16:17] offset1:11
	ds_write_b64 v187, v[98:99] offset:176
	;; [unrolled: 2-line block ×6, first 2 shown]
	s_waitcnt lgkmcnt(0)
	s_barrier
	buffer_gl0_inv
	ds_read2_b64 v[8:11], v3 offset0:82 offset1:181
	ds_read2_b64 v[12:15], v5 offset0:36 offset1:135
	ds_read2_b64 v[16:19], v179 offset1:99
	ds_read2_b64 v[20:23], v4 offset0:24 offset1:123
	ds_read2_b64 v[24:27], v7 offset0:70 offset1:169
	;; [unrolled: 1-line block ×6, first 2 shown]
	s_waitcnt lgkmcnt(0)
	s_barrier
	buffer_gl0_inv
	v_mul_f32_e32 v100, v53, v9
	v_mul_f32_e32 v53, v53, v8
	;; [unrolled: 1-line block ×3, first 2 shown]
	v_fmac_f32_e32 v100, v52, v8
	v_mul_f32_e32 v8, v55, v12
	v_fma_f32 v9, v52, v9, -v53
	v_mul_f32_e32 v52, v49, v11
	v_fmac_f32_e32 v101, v54, v12
	v_mul_f32_e32 v12, v49, v10
	v_fma_f32 v13, v54, v13, -v8
	v_mul_f32_e32 v49, v51, v15
	v_fmac_f32_e32 v52, v48, v10
	v_mul_f32_e32 v8, v51, v14
	v_mul_f32_e32 v51, v45, v21
	v_mul_f32_e32 v10, v45, v20
	v_mul_f32_e32 v45, v47, v29
	v_fma_f32 v48, v48, v11, -v12
	v_fma_f32 v15, v50, v15, -v8
	v_fmac_f32_e32 v51, v44, v20
	v_mul_f32_e32 v8, v47, v28
	v_fma_f32 v21, v44, v21, -v10
	v_mul_f32_e32 v44, v41, v23
	v_mul_f32_e32 v10, v41, v22
	v_fmac_f32_e32 v45, v46, v28
	v_fma_f32 v28, v46, v29, -v8
	v_mul_f32_e32 v8, v43, v30
	v_fmac_f32_e32 v44, v40, v22
	v_fma_f32 v40, v40, v23, -v10
	v_mul_f32_e32 v41, v37, v93
	v_mul_f32_e32 v10, v37, v92
	;; [unrolled: 1-line block ×3, first 2 shown]
	v_fma_f32 v31, v42, v31, -v8
	v_mul_f32_e32 v37, v39, v97
	v_fmac_f32_e32 v41, v36, v92
	v_mul_f32_e32 v8, v39, v96
	v_fma_f32 v36, v36, v93, -v10
	v_mul_f32_e32 v10, v33, v94
	v_fmac_f32_e32 v37, v38, v96
	v_fmac_f32_e32 v49, v50, v14
	v_fma_f32 v38, v38, v97, -v8
	v_mul_f32_e32 v8, v35, v98
	v_fma_f32 v43, v32, v95, -v10
	v_add_f32_e32 v10, v100, v101
	v_add_f32_e32 v11, v16, v100
	;; [unrolled: 1-line block ×3, first 2 shown]
	v_fma_f32 v46, v34, v99, -v8
	v_sub_f32_e32 v14, v9, v13
	v_fma_f32 v8, -0.5, v10, v16
	v_add_f32_e32 v10, v11, v101
	v_add_f32_e32 v11, v17, v9
	v_fma_f32 v9, -0.5, v12, v17
	v_sub_f32_e32 v16, v100, v101
	v_fmamk_f32 v12, v14, 0xbf5db3d7, v8
	v_fmac_f32_e32 v8, 0x3f5db3d7, v14
	v_add_f32_e32 v14, v52, v49
	v_add_f32_e32 v11, v11, v13
	v_fmamk_f32 v13, v16, 0x3f5db3d7, v9
	v_add_f32_e32 v17, v18, v52
	v_fmac_f32_e32 v9, 0xbf5db3d7, v16
	v_add_f32_e32 v16, v48, v15
	v_fma_f32 v18, -0.5, v14, v18
	v_sub_f32_e32 v20, v48, v15
	v_mul_f32_e32 v39, v33, v95
	v_add_f32_e32 v14, v17, v49
	v_add_f32_e32 v17, v19, v48
	v_fmac_f32_e32 v19, -0.5, v16
	v_sub_f32_e32 v22, v52, v49
	v_fmamk_f32 v16, v20, 0xbf5db3d7, v18
	v_fmac_f32_e32 v18, 0x3f5db3d7, v20
	v_add_f32_e32 v20, v51, v45
	v_add_f32_e32 v23, v24, v51
	v_fmac_f32_e32 v29, v42, v30
	v_fmac_f32_e32 v39, v32, v94
	v_add_f32_e32 v15, v17, v15
	v_fmamk_f32 v17, v22, 0x3f5db3d7, v19
	v_fmac_f32_e32 v19, 0xbf5db3d7, v22
	v_fma_f32 v20, -0.5, v20, v24
	v_sub_f32_e32 v32, v21, v28
	v_add_f32_e32 v22, v23, v45
	v_add_f32_e32 v23, v25, v21
	;; [unrolled: 1-line block ×3, first 2 shown]
	v_mul_f32_e32 v42, v35, v99
	v_fmamk_f32 v24, v32, 0xbf5db3d7, v20
	v_fmac_f32_e32 v20, 0x3f5db3d7, v32
	v_add_f32_e32 v23, v23, v28
	v_add_f32_e32 v28, v44, v29
	;; [unrolled: 1-line block ×3, first 2 shown]
	v_fma_f32 v21, -0.5, v30, v25
	v_sub_f32_e32 v30, v51, v45
	v_fmac_f32_e32 v42, v34, v98
	v_fma_f32 v26, -0.5, v28, v26
	v_add_f32_e32 v28, v32, v29
	v_add_f32_e32 v32, v27, v40
	v_fmamk_f32 v25, v30, 0x3f5db3d7, v21
	v_fmac_f32_e32 v21, 0xbf5db3d7, v30
	v_add_f32_e32 v30, v40, v31
	v_sub_f32_e32 v33, v40, v31
	v_sub_f32_e32 v34, v44, v29
	v_add_f32_e32 v29, v32, v31
	v_add_f32_e32 v32, v41, v37
	v_fmac_f32_e32 v27, -0.5, v30
	v_fmamk_f32 v30, v33, 0xbf5db3d7, v26
	v_fmac_f32_e32 v26, 0x3f5db3d7, v33
	v_add_f32_e32 v33, v88, v41
	v_add_f32_e32 v35, v36, v38
	v_fma_f32 v32, -0.5, v32, v88
	v_sub_f32_e32 v40, v36, v38
	v_add_f32_e32 v44, v89, v36
	v_fmamk_f32 v31, v34, 0x3f5db3d7, v27
	v_fmac_f32_e32 v27, 0xbf5db3d7, v34
	v_add_f32_e32 v34, v33, v37
	v_fma_f32 v33, -0.5, v35, v89
	v_sub_f32_e32 v41, v41, v37
	v_fmamk_f32 v36, v40, 0xbf5db3d7, v32
	v_fmac_f32_e32 v32, 0x3f5db3d7, v40
	v_add_f32_e32 v35, v44, v38
	v_add_f32_e32 v38, v39, v42
	;; [unrolled: 1-line block ×3, first 2 shown]
	v_fmamk_f32 v37, v41, 0x3f5db3d7, v33
	v_fmac_f32_e32 v33, 0xbf5db3d7, v41
	v_add_f32_e32 v41, v90, v39
	v_fma_f32 v90, -0.5, v38, v90
	v_sub_f32_e32 v44, v43, v46
	v_add_f32_e32 v43, v91, v43
	v_fmac_f32_e32 v91, -0.5, v40
	v_sub_f32_e32 v45, v39, v42
	v_add_f32_e32 v38, v41, v42
	v_fmamk_f32 v40, v44, 0xbf5db3d7, v90
	v_fmac_f32_e32 v90, 0x3f5db3d7, v44
	v_add_f32_e32 v39, v43, v46
	v_fmamk_f32 v41, v45, 0x3f5db3d7, v91
	v_fmac_f32_e32 v91, 0xbf5db3d7, v45
	ds_write2_b64 v194, v[10:11], v[12:13] offset1:33
	ds_write_b64 v194, v[8:9] offset:528
	ds_write2_b64 v193, v[14:15], v[16:17] offset1:33
	ds_write_b64 v193, v[18:19] offset:528
	;; [unrolled: 2-line block ×6, first 2 shown]
	s_waitcnt lgkmcnt(0)
	s_barrier
	buffer_gl0_inv
	ds_read2_b64 v[8:11], v3 offset0:82 offset1:181
	ds_read2_b64 v[12:15], v5 offset0:36 offset1:135
	ds_read2_b64 v[16:19], v179 offset1:99
	ds_read2_b64 v[20:23], v4 offset0:24 offset1:123
	ds_read2_b64 v[24:27], v7 offset0:70 offset1:169
	;; [unrolled: 1-line block ×6, first 2 shown]
	s_waitcnt lgkmcnt(0)
	s_barrier
	buffer_gl0_inv
	v_mul_f32_e32 v44, v73, v9
	v_mul_f32_e32 v45, v73, v8
	;; [unrolled: 1-line block ×5, first 2 shown]
	v_fmac_f32_e32 v44, v72, v8
	v_mul_f32_e32 v8, v75, v12
	v_fma_f32 v9, v72, v9, -v45
	v_mul_f32_e32 v45, v73, v11
	v_fmac_f32_e32 v46, v74, v12
	v_mul_f32_e32 v12, v73, v10
	v_fma_f32 v13, v74, v13, -v8
	v_mul_f32_e32 v8, v75, v14
	v_fmac_f32_e32 v45, v72, v10
	v_mul_f32_e32 v10, v69, v20
	v_mul_f32_e32 v50, v71, v29
	;; [unrolled: 1-line block ×3, first 2 shown]
	v_fma_f32 v15, v74, v15, -v8
	v_mul_f32_e32 v8, v71, v28
	v_fma_f32 v21, v68, v21, -v10
	v_mul_f32_e32 v10, v65, v22
	v_fmac_f32_e32 v50, v70, v28
	v_mul_f32_e32 v54, v63, v41
	v_fma_f32 v28, v70, v29, -v8
	v_mul_f32_e32 v8, v67, v30
	v_fma_f32 v52, v64, v23, -v10
	v_mul_f32_e32 v10, v61, v36
	v_mul_f32_e32 v29, v67, v31
	;; [unrolled: 1-line block ×3, first 2 shown]
	v_fma_f32 v31, v66, v31, -v8
	v_mul_f32_e32 v8, v63, v40
	v_fma_f32 v37, v60, v37, -v10
	v_mul_f32_e32 v10, v57, v38
	v_fmac_f32_e32 v54, v62, v40
	v_fmac_f32_e32 v55, v56, v38
	v_fma_f32 v40, v62, v41, -v8
	v_mul_f32_e32 v8, v59, v42
	v_fma_f32 v56, v56, v39, -v10
	v_add_f32_e32 v10, v44, v46
	v_fma_f32 v48, v72, v11, -v12
	v_fmac_f32_e32 v47, v74, v14
	v_mul_f32_e32 v41, v59, v43
	v_add_f32_e32 v11, v16, v44
	v_fma_f32 v43, v58, v43, -v8
	v_add_f32_e32 v12, v9, v13
	v_fma_f32 v8, -0.5, v10, v16
	v_sub_f32_e32 v14, v9, v13
	v_add_f32_e32 v10, v11, v46
	v_add_f32_e32 v11, v17, v9
	v_fma_f32 v9, -0.5, v12, v17
	v_sub_f32_e32 v16, v44, v46
	v_fmamk_f32 v12, v14, 0xbf5db3d7, v8
	v_fmac_f32_e32 v8, 0x3f5db3d7, v14
	v_add_f32_e32 v14, v45, v47
	v_fmac_f32_e32 v49, v68, v20
	v_mul_f32_e32 v51, v65, v23
	v_add_f32_e32 v11, v11, v13
	v_fmamk_f32 v13, v16, 0x3f5db3d7, v9
	v_add_f32_e32 v17, v18, v45
	v_fmac_f32_e32 v9, 0xbf5db3d7, v16
	v_add_f32_e32 v16, v48, v15
	v_fma_f32 v18, -0.5, v14, v18
	v_sub_f32_e32 v20, v48, v15
	v_fmac_f32_e32 v51, v64, v22
	v_add_f32_e32 v14, v17, v47
	v_add_f32_e32 v17, v19, v48
	v_fmac_f32_e32 v19, -0.5, v16
	v_sub_f32_e32 v22, v45, v47
	v_fmamk_f32 v16, v20, 0xbf5db3d7, v18
	v_fmac_f32_e32 v18, 0x3f5db3d7, v20
	v_add_f32_e32 v20, v49, v50
	v_add_f32_e32 v23, v24, v49
	v_fmac_f32_e32 v29, v66, v30
	v_add_f32_e32 v30, v21, v28
	v_fmac_f32_e32 v53, v60, v36
	v_add_f32_e32 v15, v17, v15
	v_fmamk_f32 v17, v22, 0x3f5db3d7, v19
	v_fmac_f32_e32 v19, 0xbf5db3d7, v22
	v_fma_f32 v20, -0.5, v20, v24
	v_sub_f32_e32 v36, v21, v28
	v_add_f32_e32 v22, v23, v50
	v_add_f32_e32 v23, v25, v21
	v_fma_f32 v21, -0.5, v30, v25
	v_sub_f32_e32 v30, v49, v50
	v_fmamk_f32 v24, v36, 0xbf5db3d7, v20
	v_fmac_f32_e32 v20, 0x3f5db3d7, v36
	v_add_f32_e32 v23, v23, v28
	v_add_f32_e32 v28, v51, v29
	;; [unrolled: 1-line block ×3, first 2 shown]
	v_fmamk_f32 v25, v30, 0x3f5db3d7, v21
	v_fmac_f32_e32 v21, 0xbf5db3d7, v30
	v_add_f32_e32 v30, v52, v31
	v_fma_f32 v26, -0.5, v28, v26
	v_add_f32_e32 v28, v36, v29
	v_add_f32_e32 v36, v27, v52
	v_sub_f32_e32 v39, v51, v29
	v_fmac_f32_e32 v27, -0.5, v30
	v_sub_f32_e32 v38, v52, v31
	v_fmac_f32_e32 v41, v58, v42
	v_add_f32_e32 v29, v36, v31
	v_add_f32_e32 v36, v53, v54
	v_fmamk_f32 v31, v39, 0x3f5db3d7, v27
	v_fmac_f32_e32 v27, 0xbf5db3d7, v39
	v_add_f32_e32 v39, v37, v40
	v_fmamk_f32 v30, v38, 0xbf5db3d7, v26
	v_fmac_f32_e32 v26, 0x3f5db3d7, v38
	v_add_f32_e32 v38, v32, v53
	v_fma_f32 v32, -0.5, v36, v32
	v_sub_f32_e32 v42, v37, v40
	v_add_f32_e32 v37, v33, v37
	v_fma_f32 v33, -0.5, v39, v33
	v_sub_f32_e32 v44, v53, v54
	v_add_f32_e32 v36, v38, v54
	v_fmamk_f32 v38, v42, 0xbf5db3d7, v32
	v_fmac_f32_e32 v32, 0x3f5db3d7, v42
	v_add_f32_e32 v37, v37, v40
	v_add_f32_e32 v40, v55, v41
	;; [unrolled: 1-line block ×3, first 2 shown]
	v_fmamk_f32 v39, v44, 0x3f5db3d7, v33
	v_fmac_f32_e32 v33, 0xbf5db3d7, v44
	v_add_f32_e32 v44, v34, v55
	v_fma_f32 v34, -0.5, v40, v34
	v_sub_f32_e32 v45, v56, v43
	v_add_f32_e32 v46, v35, v56
	v_fmac_f32_e32 v35, -0.5, v42
	v_sub_f32_e32 v47, v55, v41
	v_add_f32_e32 v40, v44, v41
	v_add_nc_u32_e32 v44, 0x1000, v198
	ds_write2_b64 v179, v[10:11], v[12:13] offset1:99
	ds_write2_b64 v7, v[8:9], v[14:15] offset0:70 offset1:169
	ds_write2_b64 v2, v[16:17], v[18:19] offset0:140 offset1:239
	v_add_nc_u32_e32 v8, 0x1800, v195
	v_add_nc_u32_e32 v9, 0x2400, v197
	v_fmamk_f32 v42, v45, 0xbf5db3d7, v34
	v_fmac_f32_e32 v34, 0x3f5db3d7, v45
	v_add_f32_e32 v41, v46, v43
	v_fmamk_f32 v43, v47, 0x3f5db3d7, v35
	v_fmac_f32_e32 v35, 0xbf5db3d7, v47
	v_add_nc_u32_e32 v10, 0x2c00, v196
	ds_write2_b64 v44, v[22:23], v[24:25] offset0:82 offset1:181
	ds_write_b64 v198, v[20:21] offset:6336
	ds_write2_b64 v8, v[28:29], v[30:31] offset0:123 offset1:222
	ds_write_b64 v195, v[26:27] offset:8712
	;; [unrolled: 2-line block ×4, first 2 shown]
	s_waitcnt lgkmcnt(0)
	s_barrier
	buffer_gl0_inv
	ds_read2_b64 v[8:11], v3 offset0:82 offset1:181
	ds_read2_b64 v[12:15], v5 offset0:36 offset1:135
	ds_read2_b64 v[16:19], v179 offset1:99
	ds_read2_b64 v[20:23], v4 offset0:24 offset1:123
	ds_read2_b64 v[24:27], v7 offset0:70 offset1:169
	;; [unrolled: 1-line block ×6, first 2 shown]
	s_waitcnt lgkmcnt(0)
	s_barrier
	buffer_gl0_inv
	v_mul_f32_e32 v44, v85, v9
	v_mul_f32_e32 v45, v85, v8
	;; [unrolled: 1-line block ×5, first 2 shown]
	v_fmac_f32_e32 v44, v84, v8
	v_mul_f32_e32 v8, v87, v12
	v_fma_f32 v9, v84, v9, -v45
	v_mul_f32_e32 v45, v81, v11
	v_fmac_f32_e32 v46, v86, v12
	v_mul_f32_e32 v12, v81, v10
	v_fma_f32 v13, v86, v13, -v8
	v_mul_f32_e32 v8, v83, v14
	v_fmac_f32_e32 v45, v80, v10
	v_mul_f32_e32 v10, v77, v20
	v_mul_f32_e32 v50, v79, v29
	;; [unrolled: 1-line block ×3, first 2 shown]
	v_fma_f32 v15, v82, v15, -v8
	v_mul_f32_e32 v8, v79, v28
	v_fma_f32 v21, v76, v21, -v10
	v_mul_f32_e32 v10, v85, v22
	v_fmac_f32_e32 v50, v78, v28
	v_mul_f32_e32 v54, v83, v41
	v_fma_f32 v28, v78, v29, -v8
	v_mul_f32_e32 v8, v87, v30
	v_fma_f32 v52, v84, v23, -v10
	v_mul_f32_e32 v10, v81, v36
	v_mul_f32_e32 v29, v87, v31
	v_fmac_f32_e32 v54, v82, v40
	v_fma_f32 v31, v86, v31, -v8
	v_mul_f32_e32 v8, v83, v40
	v_fma_f32 v37, v80, v37, -v10
	v_mul_f32_e32 v10, v77, v38
	v_fma_f32 v48, v80, v11, -v12
	v_fmac_f32_e32 v47, v82, v14
	v_fma_f32 v40, v82, v41, -v8
	v_mul_f32_e32 v8, v79, v42
	v_fma_f32 v56, v76, v39, -v10
	v_add_f32_e32 v10, v44, v46
	v_mul_f32_e32 v41, v79, v43
	v_add_f32_e32 v11, v16, v44
	v_fma_f32 v43, v78, v43, -v8
	v_add_f32_e32 v12, v9, v13
	v_fma_f32 v8, -0.5, v10, v16
	v_sub_f32_e32 v14, v9, v13
	v_add_f32_e32 v10, v11, v46
	v_add_f32_e32 v11, v17, v9
	v_fma_f32 v9, -0.5, v12, v17
	v_sub_f32_e32 v16, v44, v46
	v_fmamk_f32 v12, v14, 0xbf5db3d7, v8
	v_fmac_f32_e32 v8, 0x3f5db3d7, v14
	v_add_f32_e32 v14, v45, v47
	v_fmac_f32_e32 v49, v76, v20
	v_mul_f32_e32 v51, v85, v23
	v_add_f32_e32 v11, v11, v13
	v_fmamk_f32 v13, v16, 0x3f5db3d7, v9
	v_add_f32_e32 v17, v18, v45
	v_fmac_f32_e32 v9, 0xbf5db3d7, v16
	v_add_f32_e32 v16, v48, v15
	v_fma_f32 v18, -0.5, v14, v18
	v_sub_f32_e32 v20, v48, v15
	v_fmac_f32_e32 v51, v84, v22
	v_add_f32_e32 v14, v17, v47
	v_add_f32_e32 v17, v19, v48
	v_fmac_f32_e32 v19, -0.5, v16
	v_sub_f32_e32 v22, v45, v47
	v_fmamk_f32 v16, v20, 0xbf5db3d7, v18
	v_fmac_f32_e32 v18, 0x3f5db3d7, v20
	v_add_f32_e32 v20, v49, v50
	v_add_f32_e32 v23, v24, v49
	v_fmac_f32_e32 v29, v86, v30
	v_fmac_f32_e32 v53, v80, v36
	v_add_f32_e32 v15, v17, v15
	v_fmamk_f32 v17, v22, 0x3f5db3d7, v19
	v_fmac_f32_e32 v19, 0xbf5db3d7, v22
	v_add_f32_e32 v30, v21, v28
	v_fma_f32 v20, -0.5, v20, v24
	v_sub_f32_e32 v36, v21, v28
	v_add_f32_e32 v22, v23, v50
	v_add_f32_e32 v23, v25, v21
	v_fma_f32 v21, -0.5, v30, v25
	v_sub_f32_e32 v30, v49, v50
	v_fmamk_f32 v24, v36, 0xbf5db3d7, v20
	v_fmac_f32_e32 v20, 0x3f5db3d7, v36
	v_add_f32_e32 v23, v23, v28
	v_add_f32_e32 v28, v51, v29
	;; [unrolled: 1-line block ×3, first 2 shown]
	v_mul_f32_e32 v55, v77, v39
	v_fmamk_f32 v25, v30, 0x3f5db3d7, v21
	v_fmac_f32_e32 v21, 0xbf5db3d7, v30
	v_add_f32_e32 v30, v52, v31
	v_fma_f32 v26, -0.5, v28, v26
	v_add_f32_e32 v28, v36, v29
	v_add_f32_e32 v36, v27, v52
	v_fmac_f32_e32 v55, v76, v38
	v_sub_f32_e32 v38, v52, v31
	v_fmac_f32_e32 v27, -0.5, v30
	v_sub_f32_e32 v39, v51, v29
	v_add_f32_e32 v29, v36, v31
	v_add_f32_e32 v36, v53, v54
	v_fmac_f32_e32 v41, v78, v42
	v_fmamk_f32 v30, v38, 0xbf5db3d7, v26
	v_fmac_f32_e32 v26, 0x3f5db3d7, v38
	v_fmamk_f32 v31, v39, 0x3f5db3d7, v27
	v_add_f32_e32 v38, v32, v53
	v_fmac_f32_e32 v27, 0xbf5db3d7, v39
	v_add_f32_e32 v39, v37, v40
	v_fma_f32 v32, -0.5, v36, v32
	v_sub_f32_e32 v42, v37, v40
	v_add_f32_e32 v37, v33, v37
	v_add_f32_e32 v36, v38, v54
	v_fma_f32 v33, -0.5, v39, v33
	v_sub_f32_e32 v44, v53, v54
	v_fmamk_f32 v38, v42, 0xbf5db3d7, v32
	v_fmac_f32_e32 v32, 0x3f5db3d7, v42
	v_add_f32_e32 v37, v37, v40
	v_add_f32_e32 v40, v55, v41
	;; [unrolled: 1-line block ×3, first 2 shown]
	v_fmamk_f32 v39, v44, 0x3f5db3d7, v33
	v_fmac_f32_e32 v33, 0xbf5db3d7, v44
	v_add_f32_e32 v44, v34, v55
	v_fma_f32 v34, -0.5, v40, v34
	v_sub_f32_e32 v45, v56, v43
	v_add_f32_e32 v46, v35, v56
	v_fmac_f32_e32 v35, -0.5, v42
	v_sub_f32_e32 v47, v55, v41
	v_add_f32_e32 v40, v44, v41
	v_fmamk_f32 v42, v45, 0xbf5db3d7, v34
	v_fmac_f32_e32 v34, 0x3f5db3d7, v45
	v_add_f32_e32 v41, v46, v43
	v_fmamk_f32 v43, v47, 0x3f5db3d7, v35
	v_fmac_f32_e32 v35, 0xbf5db3d7, v47
	ds_write2_b64 v179, v[10:11], v[14:15] offset1:99
	ds_write2_b64 v3, v[8:9], v[18:19] offset0:82 offset1:181
	ds_write2_b64 v7, v[22:23], v[12:13] offset0:70 offset1:169
	;; [unrolled: 1-line block ×8, first 2 shown]
	s_waitcnt lgkmcnt(0)
	s_barrier
	buffer_gl0_inv
	ds_read2_b64 v[8:11], v4 offset0:24 offset1:123
	ds_read2_b64 v[12:15], v1 offset0:94 offset1:193
	;; [unrolled: 1-line block ×3, first 2 shown]
	ds_read2_b64 v[20:23], v179 offset1:99
	ds_read2_b64 v[24:27], v7 offset0:70 offset1:169
	ds_read2_b64 v[28:31], v0 offset0:106 offset1:205
	;; [unrolled: 1-line block ×5, first 2 shown]
	s_waitcnt lgkmcnt(8)
	v_mul_f32_e32 v44, v174, v11
	v_mul_f32_e32 v45, v174, v10
	s_waitcnt lgkmcnt(7)
	v_mul_f32_e32 v46, v176, v13
	v_mul_f32_e32 v47, v172, v15
	s_waitcnt lgkmcnt(6)
	v_mul_f32_e32 v48, v164, v17
	v_fmac_f32_e32 v44, v173, v10
	v_mul_f32_e32 v10, v176, v12
	v_fma_f32 v11, v173, v11, -v45
	v_mul_f32_e32 v45, v172, v14
	v_fmac_f32_e32 v46, v175, v12
	v_mul_f32_e32 v12, v162, v18
	v_fma_f32 v13, v175, v13, -v10
	v_mul_f32_e32 v10, v164, v16
	s_waitcnt lgkmcnt(3)
	v_mul_f32_e32 v50, v170, v29
	v_fmac_f32_e32 v47, v171, v14
	v_fma_f32 v45, v171, v15, -v45
	v_mul_f32_e32 v49, v162, v19
	v_fma_f32 v51, v163, v17, -v10
	v_mul_f32_e32 v10, v170, v28
	v_fmac_f32_e32 v48, v163, v16
	v_fma_f32 v52, v161, v19, -v12
	v_mul_f32_e32 v12, v168, v30
	s_waitcnt lgkmcnt(0)
	v_mul_f32_e32 v54, v166, v41
	v_fma_f32 v29, v169, v29, -v10
	v_mul_f32_e32 v10, v166, v40
	v_mul_f32_e32 v14, v160, v42
	v_sub_f32_e32 v11, v21, v11
	v_fmac_f32_e32 v49, v161, v18
	v_mul_f32_e32 v53, v168, v31
	v_fma_f32 v41, v165, v41, -v10
	v_sub_f32_e32 v10, v20, v44
	v_fma_f32 v55, v167, v31, -v12
	v_mul_f32_e32 v56, v160, v43
	v_sub_f32_e32 v12, v22, v46
	v_fma_f32 v43, v159, v43, -v14
	v_fma_f32 v14, v20, 2.0, -v10
	v_fma_f32 v15, v21, 2.0, -v11
	v_sub_f32_e32 v13, v23, v13
	v_sub_f32_e32 v18, v24, v47
	;; [unrolled: 1-line block ×5, first 2 shown]
	v_fmac_f32_e32 v50, v169, v28
	v_fmac_f32_e32 v53, v167, v30
	;; [unrolled: 1-line block ×4, first 2 shown]
	v_fma_f32 v16, v22, 2.0, -v12
	v_fma_f32 v17, v23, 2.0, -v13
	;; [unrolled: 1-line block ×5, first 2 shown]
	v_sub_f32_e32 v26, v32, v49
	v_fma_f32 v25, v27, 2.0, -v21
	v_sub_f32_e32 v27, v33, v52
	v_sub_f32_e32 v28, v34, v50
	;; [unrolled: 1-line block ×3, first 2 shown]
	v_fma_f32 v30, v32, 2.0, -v26
	v_sub_f32_e32 v32, v36, v53
	v_fma_f32 v31, v33, 2.0, -v27
	v_sub_f32_e32 v33, v37, v55
	v_sub_f32_e32 v40, v38, v54
	;; [unrolled: 1-line block ×5, first 2 shown]
	v_fma_f32 v34, v34, 2.0, -v28
	v_fma_f32 v35, v35, 2.0, -v29
	;; [unrolled: 1-line block ×8, first 2 shown]
	ds_write2_b64 v179, v[14:15], v[16:17] offset1:99
	ds_write2_b64 v1, v[12:13], v[18:19] offset0:94 offset1:193
	ds_write2_b64 v7, v[22:23], v[24:25] offset0:70 offset1:169
	;; [unrolled: 1-line block ×8, first 2 shown]
	s_waitcnt lgkmcnt(0)
	s_barrier
	buffer_gl0_inv
	ds_read2_b64 v[3:6], v179 offset1:162
	v_mad_u64_u32 v[11:12], null, s10, v134, 0
	v_mad_u64_u32 v[15:16], null, s8, v180, 0
	s_waitcnt lgkmcnt(0)
	v_mul_f32_e32 v7, v150, v4
	v_mul_f32_e32 v8, v150, v3
	;; [unrolled: 1-line block ×3, first 2 shown]
	v_fmac_f32_e32 v7, v149, v3
	v_fma_f32 v8, v149, v4, -v8
	v_fmac_f32_e32 v17, v145, v5
	v_mul_f32_e32 v5, v146, v5
	v_cvt_f64_f32_e32 v[3:4], v7
	v_cvt_f64_f32_e32 v[7:8], v8
	;; [unrolled: 1-line block ×3, first 2 shown]
	v_mul_f64 v[3:4], v[3:4], s[4:5]
	v_mul_f64 v[13:14], v[7:8], s[4:5]
	ds_read2_b64 v[7:10], v2 offset0:68 offset1:230
	v_mov_b32_e32 v2, v12
	v_mad_u64_u32 v[19:20], null, s11, v134, v[2:3]
	v_mov_b32_e32 v2, v16
	v_cvt_f32_f64_e32 v22, v[13:14]
	v_mad_u64_u32 v[20:21], null, s9, v180, v[2:3]
	v_cvt_f32_f64_e32 v21, v[3:4]
	s_waitcnt lgkmcnt(0)
	v_mul_f32_e32 v3, v156, v8
	v_fma_f32 v2, v145, v6, -v5
	v_mul_f32_e32 v4, v156, v7
	v_mov_b32_e32 v12, v19
	v_fmac_f32_e32 v3, v155, v7
	v_mul_f64 v[6:7], v[17:18], s[4:5]
	v_cvt_f64_f32_e32 v[13:14], v2
	v_fma_f32 v2, v155, v8, -v4
	v_add_nc_u32_e32 v4, 0x1400, v179
	v_mov_b32_e32 v16, v20
	v_cvt_f64_f32_e32 v[17:18], v3
	v_lshlrev_b64 v[11:12], 3, v[11:12]
	v_cvt_f64_f32_e32 v[19:20], v2
	ds_read2_b64 v[2:5], v4 offset0:8 offset1:170
	v_lshlrev_b64 v[15:16], 3, v[15:16]
	v_add_co_u32 v8, s0, s2, v11
	v_add_co_ci_u32_e64 v12, s0, s3, v12, s0
	v_add_co_u32 v11, s0, v8, v15
	v_add_co_ci_u32_e64 v12, s0, v12, v16, s0
	s_mul_i32 s0, s9, 0xa2
	v_cvt_f32_f64_e32 v15, v[6:7]
	v_mul_f32_e32 v6, v154, v10
	v_mul_f32_e32 v7, v154, v9
	v_mul_f64 v[13:14], v[13:14], s[4:5]
	global_store_dwordx2 v[11:12], v[21:22], off
	v_mul_f64 v[17:18], v[17:18], s[4:5]
	v_fmac_f32_e32 v6, v153, v9
	s_waitcnt lgkmcnt(0)
	v_mul_f32_e32 v8, v152, v3
	v_mul_f32_e32 v9, v152, v2
	v_fma_f32 v7, v153, v10, -v7
	v_mul_f64 v[19:20], v[19:20], s[4:5]
	v_cvt_f64_f32_e32 v[21:22], v6
	v_fmac_f32_e32 v8, v151, v2
	v_fma_f32 v2, v151, v3, -v9
	v_cvt_f64_f32_e32 v[23:24], v7
	v_mul_f32_e32 v29, v148, v4
	s_add_i32 s1, s1, s0
	v_cvt_f64_f32_e32 v[25:26], v8
	v_cvt_f64_f32_e32 v[27:28], v2
	ds_read2_b64 v[6:9], v1 offset0:76 offset1:238
	ds_read2_b64 v[0:3], v0 offset0:16 offset1:178
	v_fma_f32 v29, v147, v5, -v29
	s_mul_i32 s0, s8, 0xa2
	s_lshl_b64 s[2:3], s[0:1], 3
	v_cvt_f32_f64_e32 v16, v[13:14]
	v_mul_f32_e32 v14, v148, v5
	v_add_co_u32 v10, s0, v11, s2
	v_cvt_f64_f32_e32 v[29:30], v29
	v_add_co_ci_u32_e64 v11, s0, s3, v12, s0
	v_cvt_f32_f64_e32 v13, v[19:20]
	v_mul_f64 v[19:20], v[21:22], s[4:5]
	v_fmac_f32_e32 v14, v147, v4
	v_cvt_f32_f64_e32 v12, v[17:18]
	v_mul_f64 v[21:22], v[23:24], s[4:5]
	v_add_co_u32 v17, s0, v10, s2
	v_mul_f64 v[4:5], v[25:26], s[4:5]
	v_mul_f64 v[23:24], v[27:28], s[4:5]
	ds_read_b64 v[27:28], v179 offset:12960
	v_cvt_f64_f32_e32 v[25:26], v14
	s_waitcnt lgkmcnt(2)
	v_mul_f32_e32 v14, v140, v7
	v_mul_f32_e32 v31, v140, v6
	s_waitcnt lgkmcnt(1)
	v_mul_f32_e32 v35, v136, v1
	v_mul_f32_e32 v32, v138, v9
	;; [unrolled: 1-line block ×3, first 2 shown]
	v_fmac_f32_e32 v14, v139, v6
	v_fma_f32 v31, v139, v7, -v31
	v_mul_f32_e32 v37, v142, v2
	v_fmac_f32_e32 v35, v135, v0
	v_mul_f32_e32 v0, v136, v0
	v_cvt_f64_f32_e32 v[6:7], v14
	v_mul_f32_e32 v14, v142, v3
	v_fmac_f32_e32 v32, v137, v8
	v_fma_f32 v33, v137, v9, -v33
	v_cvt_f64_f32_e32 v[8:9], v31
	v_fma_f32 v37, v141, v3, -v37
	v_fmac_f32_e32 v14, v141, v2
	v_fma_f32 v0, v135, v1, -v0
	s_waitcnt lgkmcnt(0)
	v_mul_f32_e32 v38, v144, v28
	v_mul_f32_e32 v39, v144, v27
	v_cvt_f64_f32_e32 v[31:32], v32
	v_cvt_f64_f32_e32 v[2:3], v14
	;; [unrolled: 1-line block ×3, first 2 shown]
	v_fmac_f32_e32 v38, v143, v27
	v_fma_f32 v39, v143, v28, -v39
	v_cvt_f64_f32_e32 v[27:28], v37
	v_cvt_f64_f32_e32 v[35:36], v35
	;; [unrolled: 1-line block ×5, first 2 shown]
	v_add_co_ci_u32_e64 v18, s0, s3, v11, s0
	global_store_dwordx2 v[10:11], v[15:16], off
	global_store_dwordx2 v[17:18], v[12:13], off
	v_mul_f64 v[12:13], v[25:26], s[4:5]
	v_mul_f64 v[14:15], v[29:30], s[4:5]
	;; [unrolled: 1-line block ×4, first 2 shown]
	v_add_co_u32 v16, s0, v17, s2
	v_cvt_f32_f64_e32 v4, v[4:5]
	v_cvt_f32_f64_e32 v5, v[23:24]
	v_mul_f64 v[2:3], v[2:3], s[4:5]
	v_cvt_f32_f64_e32 v10, v[19:20]
	v_cvt_f32_f64_e32 v11, v[21:22]
	v_add_co_ci_u32_e64 v17, s0, s3, v18, s0
	v_mul_f64 v[24:25], v[27:28], s[4:5]
	v_mul_f64 v[18:19], v[31:32], s[4:5]
	;; [unrolled: 1-line block ×7, first 2 shown]
	v_add_co_u32 v30, s0, v16, s2
	v_add_co_ci_u32_e64 v31, s0, s3, v17, s0
	v_cvt_f32_f64_e32 v12, v[12:13]
	v_cvt_f32_f64_e32 v13, v[14:15]
	v_add_co_u32 v14, s0, v30, s2
	v_add_co_ci_u32_e64 v15, s0, s3, v31, s0
	v_cvt_f32_f64_e32 v6, v[6:7]
	v_cvt_f32_f64_e32 v7, v[8:9]
	;; [unrolled: 4-line block ×3, first 2 shown]
	v_add_co_u32 v24, s0, v8, s2
	v_cvt_f32_f64_e32 v18, v[18:19]
	v_cvt_f32_f64_e32 v19, v[20:21]
	v_cvt_f32_f64_e32 v20, v[22:23]
	v_cvt_f32_f64_e32 v21, v[0:1]
	v_add_co_ci_u32_e64 v25, s0, s3, v9, s0
	v_cvt_f32_f64_e32 v22, v[26:27]
	v_cvt_f32_f64_e32 v23, v[28:29]
	global_store_dwordx2 v[16:17], v[10:11], off
	v_add_co_u32 v10, s0, v24, s2
	v_add_co_ci_u32_e64 v11, s0, s3, v25, s0
	global_store_dwordx2 v[30:31], v[4:5], off
	v_add_co_u32 v4, s0, v10, s2
	v_add_co_ci_u32_e64 v5, s0, s3, v11, s0
	;; [unrolled: 3-line block ×3, first 2 shown]
	global_store_dwordx2 v[8:9], v[6:7], off
	global_store_dwordx2 v[24:25], v[18:19], off
	;; [unrolled: 1-line block ×5, first 2 shown]
	s_and_b32 exec_lo, exec_lo, vcc_lo
	s_cbranch_execz .LBB0_15
; %bb.14:
	global_load_dwordx2 v[6:7], v[132:133], off offset:792
	v_add_nc_u32_e32 v2, 0x200, v179
	v_mad_u64_u32 v[0:1], null, 0xffffd078, s8, v[0:1]
	s_mul_i32 s0, s9, 0xffffd078
	ds_read2_b64 v[2:5], v2 offset0:35 offset1:197
	s_sub_i32 s0, s0, s8
	v_add_nc_u32_e32 v1, s0, v1
	s_waitcnt vmcnt(0) lgkmcnt(0)
	v_mul_f32_e32 v8, v3, v7
	v_mul_f32_e32 v7, v2, v7
	v_fmac_f32_e32 v8, v2, v6
	v_fma_f32 v6, v6, v3, -v7
	v_cvt_f64_f32_e32 v[2:3], v8
	v_cvt_f64_f32_e32 v[6:7], v6
	v_mul_f64 v[2:3], v[2:3], s[4:5]
	v_mul_f64 v[6:7], v[6:7], s[4:5]
	v_cvt_f32_f64_e32 v2, v[2:3]
	v_cvt_f32_f64_e32 v3, v[6:7]
	global_store_dwordx2 v[0:1], v[2:3], off
	global_load_dwordx2 v[2:3], v[130:131], off offset:40
	s_waitcnt vmcnt(0)
	v_mul_f32_e32 v6, v5, v3
	v_mul_f32_e32 v3, v4, v3
	v_fmac_f32_e32 v6, v4, v2
	v_fma_f32 v4, v2, v5, -v3
	v_cvt_f64_f32_e32 v[2:3], v6
	v_cvt_f64_f32_e32 v[4:5], v4
	v_mul_f64 v[2:3], v[2:3], s[4:5]
	v_mul_f64 v[4:5], v[4:5], s[4:5]
	v_cvt_f32_f64_e32 v2, v[2:3]
	v_cvt_f32_f64_e32 v3, v[4:5]
	v_add_co_u32 v4, vcc_lo, v0, s2
	v_add_co_ci_u32_e32 v5, vcc_lo, s3, v1, vcc_lo
	v_add_nc_u32_e32 v0, 0xc00, v179
	global_store_dwordx2 v[4:5], v[2:3], off
	global_load_dwordx2 v[6:7], v[130:131], off offset:1336
	ds_read2_b64 v[0:3], v0 offset0:39 offset1:201
	v_add_co_u32 v4, vcc_lo, v4, s2
	v_add_co_ci_u32_e32 v5, vcc_lo, s3, v5, vcc_lo
	s_waitcnt vmcnt(0) lgkmcnt(0)
	v_mul_f32_e32 v8, v1, v7
	v_mul_f32_e32 v7, v0, v7
	v_fmac_f32_e32 v8, v0, v6
	v_fma_f32 v6, v6, v1, -v7
	v_cvt_f64_f32_e32 v[0:1], v8
	v_cvt_f64_f32_e32 v[6:7], v6
	v_mul_f64 v[0:1], v[0:1], s[4:5]
	v_mul_f64 v[6:7], v[6:7], s[4:5]
	v_cvt_f32_f64_e32 v0, v[0:1]
	v_cvt_f32_f64_e32 v1, v[6:7]
	global_store_dwordx2 v[4:5], v[0:1], off
	global_load_dwordx2 v[0:1], v[128:129], off offset:584
	v_add_co_u32 v4, vcc_lo, v4, s2
	v_add_co_ci_u32_e32 v5, vcc_lo, s3, v5, vcc_lo
	s_waitcnt vmcnt(0)
	v_mul_f32_e32 v6, v3, v1
	v_mul_f32_e32 v1, v2, v1
	v_fmac_f32_e32 v6, v2, v0
	v_fma_f32 v2, v0, v3, -v1
	v_cvt_f64_f32_e32 v[0:1], v6
	v_cvt_f64_f32_e32 v[2:3], v2
	v_mul_f64 v[0:1], v[0:1], s[4:5]
	v_mul_f64 v[2:3], v[2:3], s[4:5]
	v_cvt_f32_f64_e32 v0, v[0:1]
	v_cvt_f32_f64_e32 v1, v[2:3]
	global_store_dwordx2 v[4:5], v[0:1], off
	global_load_dwordx2 v[6:7], v[128:129], off offset:1880
	v_add_nc_u32_e32 v0, 0x1600, v179
	v_add_co_u32 v4, vcc_lo, v4, s2
	v_add_co_ci_u32_e32 v5, vcc_lo, s3, v5, vcc_lo
	ds_read2_b64 v[0:3], v0 offset0:43 offset1:205
	s_waitcnt vmcnt(0) lgkmcnt(0)
	v_mul_f32_e32 v8, v1, v7
	v_mul_f32_e32 v7, v0, v7
	v_fmac_f32_e32 v8, v0, v6
	v_fma_f32 v6, v6, v1, -v7
	v_cvt_f64_f32_e32 v[0:1], v8
	v_cvt_f64_f32_e32 v[6:7], v6
	v_mul_f64 v[0:1], v[0:1], s[4:5]
	v_mul_f64 v[6:7], v[6:7], s[4:5]
	v_cvt_f32_f64_e32 v0, v[0:1]
	v_cvt_f32_f64_e32 v1, v[6:7]
	global_store_dwordx2 v[4:5], v[0:1], off
	global_load_dwordx2 v[0:1], v[126:127], off offset:1128
	v_add_co_u32 v4, vcc_lo, v4, s2
	v_add_co_ci_u32_e32 v5, vcc_lo, s3, v5, vcc_lo
	s_waitcnt vmcnt(0)
	v_mul_f32_e32 v6, v3, v1
	v_mul_f32_e32 v1, v2, v1
	v_fmac_f32_e32 v6, v2, v0
	v_fma_f32 v2, v0, v3, -v1
	v_cvt_f64_f32_e32 v[0:1], v6
	v_cvt_f64_f32_e32 v[2:3], v2
	v_mul_f64 v[0:1], v[0:1], s[4:5]
	v_mul_f64 v[2:3], v[2:3], s[4:5]
	v_cvt_f32_f64_e32 v0, v[0:1]
	v_cvt_f32_f64_e32 v1, v[2:3]
	global_store_dwordx2 v[4:5], v[0:1], off
	global_load_dwordx2 v[6:7], v[124:125], off offset:376
	v_add_nc_u32_e32 v0, 0x2000, v179
	v_add_co_u32 v4, vcc_lo, v4, s2
	v_add_co_ci_u32_e32 v5, vcc_lo, s3, v5, vcc_lo
	ds_read2_b64 v[0:3], v0 offset0:47 offset1:209
	;; [unrolled: 32-line block ×3, first 2 shown]
	s_waitcnt vmcnt(0) lgkmcnt(0)
	v_mul_f32_e32 v8, v1, v7
	v_mul_f32_e32 v7, v0, v7
	v_fmac_f32_e32 v8, v0, v6
	v_fma_f32 v6, v6, v1, -v7
	v_cvt_f64_f32_e32 v[0:1], v8
	v_cvt_f64_f32_e32 v[6:7], v6
	v_mul_f64 v[0:1], v[0:1], s[4:5]
	v_mul_f64 v[6:7], v[6:7], s[4:5]
	v_cvt_f32_f64_e32 v0, v[0:1]
	v_cvt_f32_f64_e32 v1, v[6:7]
	global_store_dwordx2 v[4:5], v[0:1], off
	global_load_dwordx2 v[0:1], v[120:121], off offset:168
	s_waitcnt vmcnt(0)
	v_mul_f32_e32 v6, v3, v1
	v_mul_f32_e32 v1, v2, v1
	v_fmac_f32_e32 v6, v2, v0
	v_fma_f32 v2, v0, v3, -v1
	v_cvt_f64_f32_e32 v[0:1], v6
	v_cvt_f64_f32_e32 v[2:3], v2
	v_mul_f64 v[0:1], v[0:1], s[4:5]
	v_mul_f64 v[2:3], v[2:3], s[4:5]
	v_cvt_f32_f64_e32 v0, v[0:1]
	v_cvt_f32_f64_e32 v1, v[2:3]
	v_add_co_u32 v2, vcc_lo, v4, s2
	v_add_co_ci_u32_e32 v3, vcc_lo, s3, v5, vcc_lo
	ds_read_b64 v[4:5], v179 offset:13752
	global_store_dwordx2 v[2:3], v[0:1], off
	global_load_dwordx2 v[0:1], v[120:121], off offset:1464
	v_add_co_u32 v2, vcc_lo, v2, s2
	v_add_co_ci_u32_e32 v3, vcc_lo, s3, v3, vcc_lo
	s_waitcnt vmcnt(0) lgkmcnt(0)
	v_mul_f32_e32 v6, v5, v1
	v_mul_f32_e32 v1, v4, v1
	v_fmac_f32_e32 v6, v4, v0
	v_fma_f32 v4, v0, v5, -v1
	v_cvt_f64_f32_e32 v[0:1], v6
	v_cvt_f64_f32_e32 v[4:5], v4
	v_mul_f64 v[0:1], v[0:1], s[4:5]
	v_mul_f64 v[4:5], v[4:5], s[4:5]
	v_cvt_f32_f64_e32 v0, v[0:1]
	v_cvt_f32_f64_e32 v1, v[4:5]
	global_store_dwordx2 v[2:3], v[0:1], off
.LBB0_15:
	s_endpgm
	.section	.rodata,"a",@progbits
	.p2align	6, 0x0
	.amdhsa_kernel bluestein_single_back_len1782_dim1_sp_op_CI_CI
		.amdhsa_group_segment_fixed_size 14256
		.amdhsa_private_segment_fixed_size 0
		.amdhsa_kernarg_size 104
		.amdhsa_user_sgpr_count 6
		.amdhsa_user_sgpr_private_segment_buffer 1
		.amdhsa_user_sgpr_dispatch_ptr 0
		.amdhsa_user_sgpr_queue_ptr 0
		.amdhsa_user_sgpr_kernarg_segment_ptr 1
		.amdhsa_user_sgpr_dispatch_id 0
		.amdhsa_user_sgpr_flat_scratch_init 0
		.amdhsa_user_sgpr_private_segment_size 0
		.amdhsa_wavefront_size32 1
		.amdhsa_uses_dynamic_stack 0
		.amdhsa_system_sgpr_private_segment_wavefront_offset 0
		.amdhsa_system_sgpr_workgroup_id_x 1
		.amdhsa_system_sgpr_workgroup_id_y 0
		.amdhsa_system_sgpr_workgroup_id_z 0
		.amdhsa_system_sgpr_workgroup_info 0
		.amdhsa_system_vgpr_workitem_id 0
		.amdhsa_next_free_vgpr 251
		.amdhsa_next_free_sgpr 16
		.amdhsa_reserve_vcc 1
		.amdhsa_reserve_flat_scratch 0
		.amdhsa_float_round_mode_32 0
		.amdhsa_float_round_mode_16_64 0
		.amdhsa_float_denorm_mode_32 3
		.amdhsa_float_denorm_mode_16_64 3
		.amdhsa_dx10_clamp 1
		.amdhsa_ieee_mode 1
		.amdhsa_fp16_overflow 0
		.amdhsa_workgroup_processor_mode 1
		.amdhsa_memory_ordered 1
		.amdhsa_forward_progress 0
		.amdhsa_shared_vgpr_count 0
		.amdhsa_exception_fp_ieee_invalid_op 0
		.amdhsa_exception_fp_denorm_src 0
		.amdhsa_exception_fp_ieee_div_zero 0
		.amdhsa_exception_fp_ieee_overflow 0
		.amdhsa_exception_fp_ieee_underflow 0
		.amdhsa_exception_fp_ieee_inexact 0
		.amdhsa_exception_int_div_zero 0
	.end_amdhsa_kernel
	.text
.Lfunc_end0:
	.size	bluestein_single_back_len1782_dim1_sp_op_CI_CI, .Lfunc_end0-bluestein_single_back_len1782_dim1_sp_op_CI_CI
                                        ; -- End function
	.section	.AMDGPU.csdata,"",@progbits
; Kernel info:
; codeLenInByte = 23808
; NumSgprs: 18
; NumVgprs: 251
; ScratchSize: 0
; MemoryBound: 0
; FloatMode: 240
; IeeeMode: 1
; LDSByteSize: 14256 bytes/workgroup (compile time only)
; SGPRBlocks: 2
; VGPRBlocks: 31
; NumSGPRsForWavesPerEU: 18
; NumVGPRsForWavesPerEU: 251
; Occupancy: 4
; WaveLimiterHint : 1
; COMPUTE_PGM_RSRC2:SCRATCH_EN: 0
; COMPUTE_PGM_RSRC2:USER_SGPR: 6
; COMPUTE_PGM_RSRC2:TRAP_HANDLER: 0
; COMPUTE_PGM_RSRC2:TGID_X_EN: 1
; COMPUTE_PGM_RSRC2:TGID_Y_EN: 0
; COMPUTE_PGM_RSRC2:TGID_Z_EN: 0
; COMPUTE_PGM_RSRC2:TIDIG_COMP_CNT: 0
	.text
	.p2alignl 6, 3214868480
	.fill 48, 4, 3214868480
	.type	__hip_cuid_5c3042cfe53dc35a,@object ; @__hip_cuid_5c3042cfe53dc35a
	.section	.bss,"aw",@nobits
	.globl	__hip_cuid_5c3042cfe53dc35a
__hip_cuid_5c3042cfe53dc35a:
	.byte	0                               ; 0x0
	.size	__hip_cuid_5c3042cfe53dc35a, 1

	.ident	"AMD clang version 19.0.0git (https://github.com/RadeonOpenCompute/llvm-project roc-6.4.0 25133 c7fe45cf4b819c5991fe208aaa96edf142730f1d)"
	.section	".note.GNU-stack","",@progbits
	.addrsig
	.addrsig_sym __hip_cuid_5c3042cfe53dc35a
	.amdgpu_metadata
---
amdhsa.kernels:
  - .args:
      - .actual_access:  read_only
        .address_space:  global
        .offset:         0
        .size:           8
        .value_kind:     global_buffer
      - .actual_access:  read_only
        .address_space:  global
        .offset:         8
        .size:           8
        .value_kind:     global_buffer
      - .actual_access:  read_only
        .address_space:  global
        .offset:         16
        .size:           8
        .value_kind:     global_buffer
      - .actual_access:  read_only
        .address_space:  global
        .offset:         24
        .size:           8
        .value_kind:     global_buffer
      - .actual_access:  read_only
        .address_space:  global
        .offset:         32
        .size:           8
        .value_kind:     global_buffer
      - .offset:         40
        .size:           8
        .value_kind:     by_value
      - .address_space:  global
        .offset:         48
        .size:           8
        .value_kind:     global_buffer
      - .address_space:  global
        .offset:         56
        .size:           8
        .value_kind:     global_buffer
      - .address_space:  global
        .offset:         64
        .size:           8
        .value_kind:     global_buffer
      - .address_space:  global
        .offset:         72
        .size:           8
        .value_kind:     global_buffer
      - .offset:         80
        .size:           4
        .value_kind:     by_value
      - .address_space:  global
        .offset:         88
        .size:           8
        .value_kind:     global_buffer
      - .address_space:  global
        .offset:         96
        .size:           8
        .value_kind:     global_buffer
    .group_segment_fixed_size: 14256
    .kernarg_segment_align: 8
    .kernarg_segment_size: 104
    .language:       OpenCL C
    .language_version:
      - 2
      - 0
    .max_flat_workgroup_size: 99
    .name:           bluestein_single_back_len1782_dim1_sp_op_CI_CI
    .private_segment_fixed_size: 0
    .sgpr_count:     18
    .sgpr_spill_count: 0
    .symbol:         bluestein_single_back_len1782_dim1_sp_op_CI_CI.kd
    .uniform_work_group_size: 1
    .uses_dynamic_stack: false
    .vgpr_count:     251
    .vgpr_spill_count: 0
    .wavefront_size: 32
    .workgroup_processor_mode: 1
amdhsa.target:   amdgcn-amd-amdhsa--gfx1030
amdhsa.version:
  - 1
  - 2
...

	.end_amdgpu_metadata
